;; amdgpu-corpus repo=ROCm/Tensile kind=harvested arch=n/a opt=n/a

/******************************************/
/* Function Prefix                        */
/******************************************/



/******************************************/
/* Begin Kernel                           */
/******************************************/

// Component.Signature.SignatureDefault
.amdgcn_target "amdgcn-amd-amdhsa--gfx906"
.text
.protected Cijk_Alik_Bljk_HB_MT256x256x32_SN_AF0EM2_AMAS3_ASEM2_BL1_DTLA0_DTLB0_EPS0_FL1_GLVWA8_GLVWB8_GRVW8_GSU5_ISA906_K1_KLA_LPA0_LPB4_LRVW4_MMFGLC_NLCA1_NLCB1_PGR0_PLR1_SUS256_TT16_16_USFGRO0_VAW2_VS1_VW4_VWB4_WS64_WG16_16_1_WGM8
.globl Cijk_Alik_Bljk_HB_MT256x256x32_SN_AF0EM2_AMAS3_ASEM2_BL1_DTLA0_DTLB0_EPS0_FL1_GLVWA8_GLVWB8_GRVW8_GSU5_ISA906_K1_KLA_LPA0_LPB4_LRVW4_MMFGLC_NLCA1_NLCB1_PGR0_PLR1_SUS256_TT16_16_USFGRO0_VAW2_VS1_VW4_VWB4_WS64_WG16_16_1_WGM8
.p2align 8
.type Cijk_Alik_Bljk_HB_MT256x256x32_SN_AF0EM2_AMAS3_ASEM2_BL1_DTLA0_DTLB0_EPS0_FL1_GLVWA8_GLVWB8_GRVW8_GSU5_ISA906_K1_KLA_LPA0_LPB4_LRVW4_MMFGLC_NLCA1_NLCB1_PGR0_PLR1_SUS256_TT16_16_USFGRO0_VAW2_VS1_VW4_VWB4_WS64_WG16_16_1_WGM8,@function
.section .rodata,#alloc
.p2align 6
.amdhsa_kernel Cijk_Alik_Bljk_HB_MT256x256x32_SN_AF0EM2_AMAS3_ASEM2_BL1_DTLA0_DTLB0_EPS0_FL1_GLVWA8_GLVWB8_GRVW8_GSU5_ISA906_K1_KLA_LPA0_LPB4_LRVW4_MMFGLC_NLCA1_NLCB1_PGR0_PLR1_SUS256_TT16_16_USFGRO0_VAW2_VS1_VW4_VWB4_WS64_WG16_16_1_WGM8
  .amdhsa_user_sgpr_kernarg_segment_ptr 1
  .amdhsa_user_sgpr_count 2
  .amdhsa_next_free_vgpr 176 // vgprs
  .amdhsa_next_free_sgpr 86 // sgprs
  .amdhsa_group_segment_fixed_size 33024 // lds bytes
  .amdhsa_private_segment_fixed_size 0
  .amdhsa_system_sgpr_workgroup_id_x 1
  .amdhsa_system_sgpr_workgroup_id_y 1
  .amdhsa_system_sgpr_workgroup_id_z 1
  .amdhsa_system_vgpr_workitem_id 0
  .amdhsa_float_denorm_mode_32 3
  .amdhsa_float_denorm_mode_16_64 3
.end_amdhsa_kernel
.text

/******************************************/
/* Optimizations and Config:              */
/******************************************/
/* ThreadTile= 16 x 16 */
/* SubGroup= 16 x 16 */
/* VectorWidth=4 */
/* GlobalLoadVectorWidthA=8, GlobalLoadVectorWidthB=8 */
/* DirectToLdsA=False */
/* DirectToLdsB=False */
/* UseSgprForGRO=0 */
.amdgpu_metadata
---
amdhsa.version:
  - 1
  - 2
amdhsa.target: amdgcn-amd-amdhsa--gfx906
amdhsa.kernels:
  - .name: Cijk_Alik_Bljk_HB_MT256x256x32_SN_AF0EM2_AMAS3_ASEM2_BL1_DTLA0_DTLB0_EPS0_FL1_GLVWA8_GLVWB8_GRVW8_GSU5_ISA906_K1_KLA_LPA0_LPB4_LRVW4_MMFGLC_NLCA1_NLCB1_PGR0_PLR1_SUS256_TT16_16_USFGRO0_VAW2_VS1_VW4_VWB4_WS64_WG16_16_1_WGM8
    .symbol: 'Cijk_Alik_Bljk_HB_MT256x256x32_SN_AF0EM2_AMAS3_ASEM2_BL1_DTLA0_DTLB0_EPS0_FL1_GLVWA8_GLVWB8_GRVW8_GSU5_ISA906_K1_KLA_LPA0_LPB4_LRVW4_MMFGLC_NLCA1_NLCB1_PGR0_PLR1_SUS256_TT16_16_USFGRO0_VAW2_VS1_VW4_VWB4_WS64_WG16_16_1_WGM8.kd'
    .language:                   OpenCL C
    .language_version:
      - 2
      - 0
    .args:
      - .name:            Tensor2dSizeA
        .size:            8
        .offset:          0
        .value_kind:      by_value
        .value_type:      u64
      - .name:            Tensor2dSizeB
        .size:            8
        .offset:          8
        .value_kind:      by_value
        .value_type:      u64
      - .name:            AddressD
        .size:            8
        .offset:          16
        .value_kind:      by_value
        .value_type:      u64
      - .name:            AddressC
        .size:            8
        .offset:          24
        .value_kind:      by_value
        .value_type:      u64
      - .name:            AddressA
        .size:            8
        .offset:          32
        .value_kind:      by_value
        .value_type:      u64
      - .name:            AddressB
        .size:            8
        .offset:          40
        .value_kind:      by_value
        .value_type:      u64
      - .name:            Alpha
        .size:            4
        .offset:          48
        .value_kind:      by_value
        .value_type:      u32
      - .name:            Beta
        .size:            4
        .offset:          52
        .value_kind:      by_value
        .value_type:      u32
      - .name:            StridesD
        .size:            8
        .offset:          56
        .value_kind:      by_value
        .value_type:      u64
      - .name:            StridesC
        .size:            8
        .offset:          64
        .value_kind:      by_value
        .value_type:      u64
      - .name:            StridesA
        .size:            8
        .offset:          72
        .value_kind:      by_value
        .value_type:      u64
      - .name:            StridesB
        .size:            8
        .offset:          80
        .value_kind:      by_value
        .value_type:      u64
      - .name:            SizesFree
        .size:            12
        .offset:          88
        .value_kind:      by_value
        .value_type:      u96
      - .name:            SizesSum
        .size:            4
        .offset:          100
        .value_kind:      by_value
        .value_type:      u32
      - .name:            OrigStaggerUIter
        .size:            4
        .offset:          104
        .value_kind:      by_value
        .value_type:      u32
      - .name:            NumWorkGroups0
        .size:            4
        .offset:          108
        .value_kind:      by_value
        .value_type:      u32
      - .name:            NumWorkGroups1
        .size:            4
        .offset:          112
        .value_kind:      by_value
        .value_type:      u32
      - .name:            NumFullBlocks
        .size:            4
        .offset:          116
        .value_kind:      by_value
        .value_type:      u32
      - .name:            WgmRemainder1
        .size:            4
        .offset:          120
        .value_kind:      by_value
        .value_type:      u32
      - .name:            MagicNumberWgmRemainder1
        .size:            4
        .offset:          124
        .value_kind:      by_value
        .value_type:      u32
    .group_segment_fixed_size:   33024
    .kernarg_segment_align:      8
    .kernarg_segment_size:       128
    .max_flat_workgroup_size:    256
    .private_segment_fixed_size: 0
    .sgpr_count:                 86
    .sgpr_spill_count:           0
    .vgpr_count:                 176
    .vgpr_spill_count:           0
    .wavefront_size:             64
...
.end_amdgpu_metadata
Cijk_Alik_Bljk_HB_MT256x256x32_SN_AF0EM2_AMAS3_ASEM2_BL1_DTLA0_DTLB0_EPS0_FL1_GLVWA8_GLVWB8_GRVW8_GSU5_ISA906_K1_KLA_LPA0_LPB4_LRVW4_MMFGLC_NLCA1_NLCB1_PGR0_PLR1_SUS256_TT16_16_USFGRO0_VAW2_VS1_VW4_VWB4_WS64_WG16_16_1_WGM8:

/******************************************/
/* Asm syntax workarounds                 */
/******************************************/
.macro _v_add_co_u32 dst:req, cc:req, src0:req, src1:req, dpp=
   v_add_co_u32 \dst, \cc, \src0, \src1 \dpp
.endm

.macro _v_add_u32 dst:req, src0:req, src1:req, dpp=
   v_add_u32 \dst, \src0, \src1 \dpp
.endm

.macro _v_add_i32 dst:req, src0:req, src1:req, dpp=
   v_add_i32 \dst, \src0, \src1 \dpp
.endm

.macro _v_addc_co_u32 dst:req, ccOut:req, src0:req, ccIn:req, src1:req, dpp=
   v_addc_co_u32 \dst, \ccOut, \src0, \ccIn, \src1 \dpp
.endm

.macro _v_sub_co_u32 dst:req, cc:req, src0:req, src1:req, dpp=
   v_sub_co_u32 \dst, \cc, \src0, \src1 \dpp
.endm

.macro _v_sub_u32 dst:req, src0:req, src1:req, dpp=
   v_sub_u32 \dst, \src0, \src1 \dpp
.endm

.macro _v_sub_i32 dst:req, src0:req, src1:req, dpp=
   v_sub_i32 \dst, \src0, \src1 \dpp
.endm

.macro _v_add_lshl_u32 dst:req, src0:req, src1:req, shiftCnt:req
    v_add_lshl_u32 \dst, \src0, \src1, \shiftCnt
.endm

.macro _v_lshl_add_u32 dst:req, src0:req, src1:req, shiftCnt:req
    v_lshl_add_u32 \dst, \src0, \src1, \shiftCnt
.endm

.macro _v_lshl_or_b32 dst:req, src0:req, shiftCnt:req, src1:req
    v_lshl_or_b32 \dst, \src0, \shiftCnt, \src1
.endm

.macro _v_dot2acc_f32_f16 dst, src0, src1
v_dot2c_f32_f16 \dst, \src0, \src1
.endm

.macro _v_cmpx_lt_i16 dst, src0, src1=
   v_cmpx_lt_i16 \dst, \src0, \src1 
.endm

.macro _v_cmpx_lt_i32 dst, src0, src1=
   v_cmpx_lt_i32 \dst, \src0, \src1 
.endm

.macro _v_cmpx_lt_i64 dst, src0, src1=
   v_cmpx_lt_i64 \dst, \src0, \src1 
.endm

.macro _v_cmpx_lt_u16 dst, src0, src1=
   v_cmpx_lt_u16 \dst, \src0, \src1 
.endm

.macro _v_cmpx_lt_u32 dst, src0, src1=
   v_cmpx_lt_u32 \dst, \src0, \src1 
.endm

.macro _v_cmpx_lt_u64 dst, src0, src1=
   v_cmpx_lt_u64 \dst, \src0, \src1 
.endm

.macro _v_cmpx_eq_i16 dst, src0, src1=
   v_cmpx_eq_i16 \dst, \src0, \src1 
.endm

.macro _v_cmpx_eq_i32 dst, src0, src1=
   v_cmpx_eq_i32 \dst, \src0, \src1 
.endm

.macro _v_cmpx_eq_i64 dst, src0, src1=
   v_cmpx_eq_i64 \dst, \src0, \src1 
.endm

.macro _v_cmpx_eq_u16 dst, src0, src1=
   v_cmpx_eq_u16 \dst, \src0, \src1 
.endm

.macro _v_cmpx_eq_u32 dst, src0, src1=
   v_cmpx_eq_u32 \dst, \src0, \src1 
.endm

.macro _v_cmpx_eq_u64 dst, src0, src1=
   v_cmpx_eq_u64 \dst, \src0, \src1 
.endm

.macro _v_cmpx_le_i16 dst, src0, src1=
   v_cmpx_le_i16 \dst, \src0, \src1 
.endm

.macro _v_cmpx_le_i32 dst, src0, src1=
   v_cmpx_le_i32 \dst, \src0, \src1 
.endm

.macro _v_cmpx_le_i64 dst, src0, src1=
   v_cmpx_le_i64 \dst, \src0, \src1 
.endm

.macro _v_cmpx_le_u16 dst, src0, src1=
   v_cmpx_le_u16 \dst, \src0, \src1 
.endm

.macro _v_cmpx_le_u32 dst, src0, src1=
   v_cmpx_le_u32 \dst, \src0, \src1 
.endm

.macro _v_cmpx_le_u64 dst, src0, src1=
   v_cmpx_le_u64 \dst, \src0, \src1 
.endm

.macro _v_cmpx_gt_i16 dst, src0, src1=
   v_cmpx_gt_i16 \dst, \src0, \src1 
.endm

.macro _v_cmpx_gt_i32 dst, src0, src1=
   v_cmpx_gt_i32 \dst, \src0, \src1 
.endm

.macro _v_cmpx_gt_i64 dst, src0, src1=
   v_cmpx_gt_i64 \dst, \src0, \src1 
.endm

.macro _v_cmpx_gt_u16 dst, src0, src1=
   v_cmpx_gt_u16 \dst, \src0, \src1 
.endm

.macro _v_cmpx_gt_u32 dst, src0, src1=
   v_cmpx_gt_u32 \dst, \src0, \src1 
.endm

.macro _v_cmpx_gt_u64 dst, src0, src1=
   v_cmpx_gt_u64 \dst, \src0, \src1 
.endm

.macro _v_cmpx_ne_i16 dst, src0, src1=
   v_cmpx_ne_i16 \dst, \src0, \src1 
.endm

.macro _v_cmpx_ne_i32 dst, src0, src1=
   v_cmpx_ne_i32 \dst, \src0, \src1 
.endm

.macro _v_cmpx_ne_i64 dst, src0, src1=
   v_cmpx_ne_i64 \dst, \src0, \src1 
.endm

.macro _v_cmpx_ne_u16 dst, src0, src1=
   v_cmpx_ne_u16 \dst, \src0, \src1 
.endm

.macro _v_cmpx_ne_u32 dst, src0, src1=
   v_cmpx_ne_u32 \dst, \src0, \src1 
.endm

.macro _v_cmpx_ne_u64 dst, src0, src1=
   v_cmpx_ne_u64 \dst, \src0, \src1 
.endm

.macro _v_cmpx_lg_i16 dst, src0, src1=
   v_cmpx_lg_i16 \dst, \src0, \src1 
.endm

.macro _v_cmpx_lg_i32 dst, src0, src1=
   v_cmpx_lg_i32 \dst, \src0, \src1 
.endm

.macro _v_cmpx_lg_i64 dst, src0, src1=
   v_cmpx_lg_i64 \dst, \src0, \src1 
.endm

.macro _v_cmpx_lg_u16 dst, src0, src1=
   v_cmpx_lg_u16 \dst, \src0, \src1 
.endm

.macro _v_cmpx_lg_u32 dst, src0, src1=
   v_cmpx_lg_u32 \dst, \src0, \src1 
.endm

.macro _v_cmpx_lg_u64 dst, src0, src1=
   v_cmpx_lg_u64 \dst, \src0, \src1 
.endm

.macro _v_cmpx_ge_i16 dst, src0, src1=
   v_cmpx_ge_i16 \dst, \src0, \src1 
.endm

.macro _v_cmpx_ge_i32 dst, src0, src1=
   v_cmpx_ge_i32 \dst, \src0, \src1 
.endm

.macro _v_cmpx_ge_i64 dst, src0, src1=
   v_cmpx_ge_i64 \dst, \src0, \src1 
.endm

.macro _v_cmpx_ge_u16 dst, src0, src1=
   v_cmpx_ge_u16 \dst, \src0, \src1 
.endm

.macro _v_cmpx_ge_u32 dst, src0, src1=
   v_cmpx_ge_u32 \dst, \src0, \src1 
.endm

.macro _v_cmpx_ge_u64 dst, src0, src1=
   v_cmpx_ge_u64 \dst, \src0, \src1 
.endm

.macro _v_cmpx_o_i16 dst, src0, src1=
   v_cmpx_o_i16 \dst, \src0, \src1 
.endm

.macro _v_cmpx_o_i32 dst, src0, src1=
   v_cmpx_o_i32 \dst, \src0, \src1 
.endm

.macro _v_cmpx_o_i64 dst, src0, src1=
   v_cmpx_o_i64 \dst, \src0, \src1 
.endm

.macro _v_cmpx_o_u16 dst, src0, src1=
   v_cmpx_o_u16 \dst, \src0, \src1 
.endm

.macro _v_cmpx_o_u32 dst, src0, src1=
   v_cmpx_o_u32 \dst, \src0, \src1 
.endm

.macro _v_cmpx_o_u64 dst, src0, src1=
   v_cmpx_o_u64 \dst, \src0, \src1 
.endm

.macro _v_cmpx_u_i16 dst, src0, src1=
   v_cmpx_u_i16 \dst, \src0, \src1 
.endm

.macro _v_cmpx_u_i32 dst, src0, src1=
   v_cmpx_u_i32 \dst, \src0, \src1 
.endm

.macro _v_cmpx_u_i64 dst, src0, src1=
   v_cmpx_u_i64 \dst, \src0, \src1 
.endm

.macro _v_cmpx_u_u16 dst, src0, src1=
   v_cmpx_u_u16 \dst, \src0, \src1 
.endm

.macro _v_cmpx_u_u32 dst, src0, src1=
   v_cmpx_u_u32 \dst, \src0, \src1 
.endm

.macro _v_cmpx_u_u64 dst, src0, src1=
   v_cmpx_u_u64 \dst, \src0, \src1 
.endm
.macro _v_mac_f32 c:req, a:req, b:req
    v_fmac_f32 \c, \a, \b
.endmacro

/* scale global load macros */
.macro _s_load_b32 dst base offset
    s_load_dword \dst \base \offset
.endm

.macro _s_load_b64 dst base offset
    s_load_dwordx2 \dst \base \offset
.endm

.macro _s_load_b128 dst base offset
    s_load_dwordx4 \dst \base \offset
.endm

.macro _s_load_b256 dst base offset
    s_load_dwordx8 \dst \base \offset
.endm

.macro _s_load_b512 dst base offset
    s_load_dwordx16 \dst \base \offset
.endm


/* ds operation macros */
.macro _ds_load_u8 dst src offset
    ds_read_u8 \dst \src \offset
.endm

.macro _ds_load_u8_d16_hi dst src offset
    ds_read_u8_d16_hi \dst \src \offset
.endm

.macro _ds_load_u16 dst src offset
    ds_read_u16 \dst \src \offset
.endm

.macro _ds_load_u16_d16_hi dst src offset
    ds_read_u16_d16_hi \dst \src \offset
.endm

.macro _ds_load_b32 dst src offset
    ds_read_b32 \dst \src \offset
.endm

.macro _ds_load_b64 dst src offset
    ds_read_b64 \dst \src \offset
.endm

.macro _ds_load_b128 dst src offset
    ds_read_b128 \dst \src \offset
.endm

.macro _ds_store_b8 dst src offset
    ds_write_b8 \dst \src \offset
.endm

.macro _ds_store_b8_d16_hi dst src offset
    ds_write_b8_d16_hi \dst \src \offset
.endm

.macro _ds_store_b16 dst src offset
    ds_write_b16 \dst \src \offset
.endm

.macro _ds_store_b16_d16_hi dst src offset
    ds_write_b16_d16_hi \dst \src \offset
.endm

.macro _ds_store_b32 dst src offset
    ds_write_b32 \dst \src \offset
.endm

.macro _ds_store_b64 dst src offset
    ds_write_b64 \dst \src \offset
.endm

.macro _ds_store_b128 dst src offset
    ds_write_b128 \dst \src \offset
.endm

.macro _ds_load2_b32 dst src offset1 offset2
    ds_read2_b32 \dst \src \offset1 \offset2
.endm

.macro _ds_load2_b64 dst src offset1 offset2
    ds_read2_b64 \dst \src \offset1 \offset2
.endm

.macro _ds_store2_b32 dst src offset1 offset2
    ds_write2_b32 \dst \src \offset1 \offset2
.endm

.macro _ds_store2_b64 dst src offset1 offset2
    ds_write2_b64 \dst \src \offset1 \offset2
.endm


/* buffer memory operation macros */
.macro _buffer_load_b32 dst voffset base soffset offen ioffset md0 md1 md2
    buffer_load_dword \dst \voffset \base \soffset \offen \ioffset \md0 \md1 \md2
.endm

.macro _buffer_load_b64 dst voffset base soffset offen ioffset md0 md1 md2
    buffer_load_dwordx2 \dst \voffset \base \soffset \offen \ioffset \md0 \md1 \md2
.endm

.macro _buffer_load_b96 dst voffset base soffset offen ioffset md0 md1 md2
    buffer_load_dwordx3 \dst \voffset \base \soffset \offen \ioffset \md0 \md1 \md2
.endm

.macro _buffer_load_b128 dst voffset base soffset offen ioffset md0 md1 md2
    buffer_load_dwordx4 \dst \voffset \base \soffset \offen \ioffset \md0 \md1 \md2
.endm

.macro _buffer_load_d16_b16 dst voffset base soffset offen ioffset md0 md1 md2
    buffer_load_short_d16 \dst \voffset \base \soffset \offen \ioffset \md0 \md1 \md2
.endm

.macro _buffer_load_d16_hi_b16 dst voffset base soffset offen ioffset md0 md1 md2
    buffer_load_short_d16_hi \dst \voffset \base \soffset \offen \ioffset \md0 \md1 \md2
.endm

.macro _buffer_load_d16_u8 dst voffset base soffset offen ioffset md0 md1 md2
    buffer_load_ubyte_d16 \dst \voffset \base \soffset \offen \ioffset \md0 \md1 \md2
.endm

.macro _buffer_load_d16_hi_u8 dst voffset base soffset offen ioffset md0 md1 md2
    buffer_load_ubyte_d16_hi \dst \voffset \base \soffset \offen \ioffset \md0 \md1 \md2
.endm

.macro _buffer_load_u16 dst voffset base soffset offen ioffset md0 md1 md2
    buffer_load_ushort \dst \voffset \base \soffset \offen \ioffset \md0 \md1 \md2
.endm

.macro _buffer_load_b32_dtl voffset base soffset offen ioffset md0 md1 md2
    buffer_load_dword \voffset \base \soffset \offen \ioffset \md0 \md1 \md2
.endm

.macro _buffer_load_b64_dtl voffset base soffset offen ioffset md0 md1 md2
    buffer_load_dwordx2 \voffset \base \soffset \offen \ioffset \md0 \md1 \md2
.endm

.macro _buffer_load_b128_dtl voffset base soffset offen ioffset md0 md1 md2
    buffer_load_dwordx4 \voffset \base \soffset \offen \ioffset \md0 \md1 \md2
.endm

.macro _buffer_load_u16_dtl voffset base soffset offen ioffset md0 md1 md2
    buffer_load_ushort \voffset \base \soffset \offen \ioffset \md0 \md1 \md2
.endm

.macro _buffer_store_b32 src voffset base soffset offen ioffset md0 md1 md2
    buffer_store_dword \src \voffset \base \soffset \offen \ioffset \md0 \md1 \md2
.endm

.macro _buffer_store_b64 src voffset base soffset offen ioffset md0 md1 md2
    buffer_store_dwordx2 \src \voffset \base \soffset \offen \ioffset \md0 \md1 \md2
.endm

.macro _buffer_store_b96 src voffset base soffset offen ioffset md0 md1 md2
    buffer_store_dwordx3 \src \voffset \base \soffset \offen \ioffset \md0 \md1 \md2
.endm

.macro _buffer_store_b128 src voffset base soffset offen ioffset md0 md1 md2
    buffer_store_dwordx4 \src \voffset \base \soffset \offen \ioffset \md0 \md1 \md2
.endm

.macro _buffer_store_b16 src voffset base soffset offen ioffset md0 md1 md2
    buffer_store_short \src \voffset \base \soffset \offen \ioffset \md0 \md1 \md2
.endm

.macro _buffer_store_d16_hi_b16 src voffset base soffset offen ioffset md0 md1 md2
    buffer_store_short_d16_hi \src \voffset \base \soffset \offen \ioffset \md0 \md1 \md2
.endm

.macro _buffer_store_b8 src voffset base soffset offen ioffset md0 md1 md2
    buffer_store_byte \src \voffset \base \soffset \offen \ioffset \md0 \md1 \md2
.endm

.macro _buffer_store_d16_hi_b8 src voffset base soffset offen ioffset md0 md1 md2
    buffer_store_byte_d16_hi \src \voffset \base \soffset \offen \ioffset \md0 \md1 \md2
.endm

.macro _buffer_atomic_cmpswap_b32 dst voffset base soffset offen ioffset md0 md1 md2
    buffer_atomic_cmpswap \dst \voffset \base \soffset \offen \ioffset \md0 \md1 \md2
.endm

.macro _buffer_atomic_cmpswap_b64 dst voffset base soffset offen ioffset md0 md1 md2
    buffer_atomic_cmpswap_x2 \dst \voffset \base \soffset \offen \ioffset \md0 \md1 \md2
.endm


/* buffer memory operation macros */
.macro _global_load_b32 dst base src ioffset md0 md1 md2
    global_load_dword \dst \base \src \ioffset \md0 \md1 \md2
.endm

.macro _global_load_b64 dst base src ioffset md0 md1 md2
    global_load_dwordx2 \dst \base \src \ioffset \md0 \md1 \md2
.endm

.macro _global_load_b96 dst base src ioffset md0 md1 md2
    global_load_dwordx3 \dst \base \src \ioffset \md0 \md1 \md2
.endm

.macro _global_load_b128 dst base src ioffset md0 md1 md2
    global_load_dwordx4 \dst \base \src \ioffset \md0 \md1 \md2
.endm

.macro _global_load_d16_b16 dst base src ioffset md0 md1 md2
    global_load_short_d16 \dst \base \src \ioffset \md0 \md1 \md2
.endm

.macro _global_load_d16_hi_b16 dst base src ioffset md0 md1 md2
    global_load_short_d16_hi \dst \base \src \ioffset \md0 \md1 \md2
.endm

.macro _global_load_d16_u8 dst base src ioffset md0 md1 md2
    global_load_ubyte_d16 \dst \base \src \ioffset \md0 \md1 \md2
.endm

.macro _global_load_d16_hi_u8 dst base src ioffset md0 md1 md2
    global_load_ubyte_d16_hi \dst \base \src \ioffset \md0 \md1 \md2
.endm

.macro _global_load_u16 dst base src ioffset md0 md1 md2
    global_load_ushort \dst \base \src \ioffset \md0 \md1 \md2
.endm

.macro _global_store_b32 base src src2 md0 md1 md2
    global_store_dword \base \src \src2 \md0 \md1 \md2
.endm

.macro _global_store_b64 base src src2 md0 md1 md2
    global_store_dwordx2 \base \src \src2 \md0 \md1 \md2
.endm

.macro _global_store_b96 base src src2 md0 md1 md2
    global_store_dwordx3 \base \src \src2 \md0 \md1 \md2
.endm

.macro _global_store_b128 base src src2 md0 md1 md2
    global_store_dwordx4 \base \src \src2 \md0 \md1 \md2
.endm

.macro _global_store_d16_b16 base src src2 md0 md1 md2
    global_store_short \base \src \src2 \md0 \md1 \md2
.endm

.macro _global_store_d16_hi_b16 base src src2 md0 md1 md2
    global_store_short_d16_hi \base \src \src2 \md0 \md1 \md2
.endm

.macro _global_store_d16_u8 base src src2 md0 md1 md2
    global_store_ubyte_d16 \base \src \src2 \md0 \md1 \md2
.endm

.macro _global_store_d16_hi_u8 base src src2 md0 md1 md2
    global_store_ubyte_d16_hi \base \src \src2 \md0 \md1 \md2
.endm

.macro _global_store_u16 base src src2 md0 md1 md2
    global_store_ushort \base \src \src2 \md0 \md1 \md2
.endm

.macro _global_atomic_cmpswap_b32 tmp base data src ioffset md
    global_atomic_cmpswap \tmp \base \data \src \ioffset \md
.endm

.macro _global_atomic_cmpswap_b64 tmp base data src ioffset md
    global_atomic_cmpswap_x2 \tmp \base \data \src \ioffset \md
.endm


/******************************************/
/* Magic div and mod functions            */
/******************************************/
.macro V_MAGIC_DIV dstIdx:req, dividend:req, magicNumber:req, magicShift:req, magicA:req
    v_mul_hi_u32 v[\dstIdx+1], \dividend, \magicNumber
    v_mul_lo_u32 v[\dstIdx+0], \dividend, \magicA
    _v_add_u32 v[\dstIdx+0], v[\dstIdx+0], v[\dstIdx+1]
    v_lshrrev_b32 v[\dstIdx+0], \magicShift, v[\dstIdx+0]
.endm

/******************************************/
/* VGPR Assignments                       */
/******************************************/
/* ValuC range: [0-128),  */
.set vgprValuC, 0
/* ValuA/B   Xn=PLR buffer idx,  In=InnerUnroll idx */
.set vgprValuA_X0_I0, 128
.set vgprValuA_X1_I0, 136
.set vgprG2LA, 128
.set vgprValuB_X0_I0, 144
.set vgprValuB_X1_I0, 152
.set vgprG2LB, 144
.set vgprLocalWriteAddrA, 160
.set vgprLocalWriteAddrB, 161
.set vgprGlobalReadOffsetA, 162
.set vgprGlobalReadOffsetB, 166
.set vgprLocalReadAddrA, 170
.set vgprLocalReadAddrB, 171
.set vgprSerial, 172
/* Num VGPR=176 */
/* Num AccVGPR=0 */

/******************************************/
/* SGPR Assignments                       */
/******************************************/
.set sgprKernArgAddress, 0 // (2)
.set sgprWorkGroup0, 2 // (1)
.set sgprWorkGroup1, 3 // (1)
.set sgprWorkGroup2, 4 // (1)
.set sgprGSUSumIdx, 5 // (2)
.set sgprLoopCounterL, 7 // (1)
.set sgprOrigLoopCounter, 8 // (1)
.set sgprSrdA, 12 // (4)
.set sgprSrdB, 16 // (4)
.set sgprSrdD, 20 // (4)
.set sgprSrdC, 24 // (4)
.set sgprTensor2dSizeA, 28 // (2)
.set sgprTensor2dSizeB, 30 // (2)
.set sgprAddressD, 32 // (2)
.set sgprAddressC, 34 // (2)
.set sgprAddressA, 36 // (2)
.set sgprAddressB, 38 // (2)
.set sgprAlpha, 40 // (1)
.set sgprBeta, 41 // (1)
.set sgprStridesD, 42 // (2)
.set sgprStridesC, 44 // (2)
.set sgprStridesA, 46 // (2)
.set sgprStridesB, 48 // (2)
.set sgprSizesFree, 50 // (3)
.set sgprSizesSum, 53 // (1)
.set sgprOrigStaggerUIter, 54 // (1)
.set sgprNumWorkGroups0, 55 // (1)
.set sgprNumWorkGroups1, 56 // (1)
.set sgprNumFullBlocks, 57 // (1)
.set sgprWgmRemainder1, 58 // (1)
.set sgprMagicNumberWgmRemainder1, 59 // (1)
.set sgprShadowLimitA, 0 // (2)
.set sgprShadowLimitB, 36 // (2)
.set sgprStaggerUIter, 9 // (1)
.set sgprWrapUA, 38 // (2)
.set sgprWrapUB, 60 // (2)
.set sgprGlobalReadIncsA, 62 // (1)
.set sgprGlobalReadIncsB, 63 // (1)
/* max SGPR=86 */

/* Size Assignments */
.set sgprSizeI, sgprSizesFree+0
.set sgprSizeJ, sgprSizesFree+1
.set sgprSizeK, sgprSizesFree+2
.set sgprSizeL, sgprSizesSum+0

/* Stride Assignments */
.set constStrideD0I, 1
.set sgprStrideD1J, sgprStridesD+0
.set sgprStrideDK, sgprStridesD+1
.set constStrideC0I, 1
.set sgprStrideC1J, sgprStridesC+0
.set sgprStrideCK, sgprStridesC+1
.set constStrideAL, 1
.set sgprStrideA0I, sgprStridesA+0
.set sgprStrideAK, sgprStridesA+1
.set constStrideBL, 1
.set sgprStrideB1J, sgprStridesB+0
.set sgprStrideBK, sgprStridesB+1

.set MT0, 256
.set MT1, 256
.set DepthU, 32
.set GSU, 5
.set BpeA, 2
.set BpeALog2, 1
.set BpeB, 2
.set BpeBLog2, 1
/* Number of elements to shift-left SRD */
.set SrdShiftLeftA, 8
.set SrdShiftLeftB, 8
/* 2GB limit - set offsets to -1 to exceed this and clamp */
.set BufferLimitA, 0xffffffff
.set BufferLimitB, 0xffffffff
.set BufferOOB, 0xfffff000

/******************************************/
/* Bits 127:96 of SRD.                    */
/* hex: 0x00020000                        */
/* dst_sel_x (3b): 0                      */
/* dst_sel_y (3b): 0                      */
/* dst_sel_z (3b): 0                      */
/* dst_sel_w (3b): 0                      */
/* num_format (3b): 0                     */
/* data_format (4b): 4                    */
/* user_vm_enable (1b): 0                 */
/* user_vm_mode (1b): 0                   */
/* index_stride (2b): 0                   */
/* add_tid_enable (1b): 0                 */
/* _unusedA (3b): 0                       */
/* nv (1b): 0                             */
/* _unusedB (2b): 0                       */
/* type (2b): 0                           */
/******************************************/
.set Srd127_96, 0x00020000

/* Global Offset A */
.macro GLOBAL_OFFSET_A vgprAddr:req vgprOffsetL:req vgprOffset0I:req vgprTmp:req
v_mul_lo_u32 v[\vgprTmp+0], s[sgprStrideA0I], v[\vgprOffset0I] // mul d1 lower
_v_add_co_u32 v[\vgprAddr+0], vcc, v[\vgprOffsetL], v[\vgprTmp+0] // accumulate K lower
_v_add_u32 v[\vgprAddr+0], 0x8, v[\vgprAddr+0]     // add prepad for pointer shift
v_lshlrev_b32 v[\vgprAddr+0], 0x1, v[\vgprAddr+0]  // offset *= bytes/element
.endm

/* Global Offset B */
.macro GLOBAL_OFFSET_B vgprAddr:req vgprOffsetL:req vgprOffset1J:req vgprTmp:req
v_mul_lo_u32 v[\vgprTmp+0], s[sgprStrideB1J], v[\vgprOffset1J] // mul d1 lower
_v_add_co_u32 v[\vgprAddr+0], vcc, v[\vgprOffsetL], v[\vgprTmp+0] // accumulate K lower
_v_add_u32 v[\vgprAddr+0], 0x8, v[\vgprAddr+0]     // add prepad for pointer shift
v_lshlrev_b32 v[\vgprAddr+0], 0x1, v[\vgprAddr+0]  // offset *= bytes/element
.endm

/******************************************/
/* Dynamic Scalar Divide: vQuotient=vDividend/vDivisor; vRemainder=vDividend%vDivisor; */
/******************************************/
.macro DYNAMIC_VECTOR_DIVIDE vQuotient vRemainder vDividend vDivisor vTmp0 vTmp1 sTmp
v_cvt_f32_u32 v[\vQuotient], v[\vDivisor]          // 
v_rcp_f32 v[\vQuotient], v[\vQuotient]             // 
v_mul_f32 v[\vQuotient], 0x4f800000, v[\vQuotient] // 
v_cvt_u32_f32 v[\vQuotient], v[\vQuotient]         // 
v_mul_lo_u32 v[\vRemainder], v[\vDivisor], v[\vQuotient] // 
v_mul_hi_u32 v[\vTmp0], v[\vDivisor], v[\vQuotient] // 
_v_sub_co_u32 v[\vTmp1], vcc, 0x0, v[\vRemainder]  // 
v_cmp_ne_i32 s[\sTmp:\sTmp+1], 0x0, v[\vTmp0]      // 
v_cndmask_b32 v[\vRemainder], v[\vTmp1], v[\vRemainder], s[\sTmp:\sTmp+1] // 
v_mul_hi_u32 v[\vRemainder], v[\vRemainder], v[\vQuotient] // 
_v_sub_co_u32 v[\vTmp0], vcc, v[\vQuotient], v[\vRemainder] // 
_v_add_co_u32 v[\vQuotient], vcc, v[\vQuotient], v[\vRemainder] // 
v_cndmask_b32 v[\vQuotient], v[\vQuotient], v[\vTmp0], s[\sTmp:\sTmp+1] // 
v_mul_hi_u32 v[\vQuotient], v[\vQuotient], v[\vDividend] // 
v_mul_lo_u32 v[\vRemainder], v[\vQuotient], v[\vDivisor] // 
_v_sub_co_u32 v[\vTmp0], vcc, v[\vDividend], v[\vRemainder] // 
v_cmp_ge_u32 s[\sTmp:\sTmp+1], v[\vDividend], v[\vRemainder] // 
_v_add_co_u32 v[\vRemainder], vcc, 0x1, v[\vQuotient] // 
_v_add_co_u32 v[\vTmp1], vcc, -1, v[\vQuotient]    // 
v_cmp_le_u32 vcc, v[\vDivisor], v[\vTmp0]          // 
s_and_b64 vcc, s[\sTmp:\sTmp+1], vcc               // 
v_cndmask_b32 v[\vQuotient], v[\vQuotient], v[\vRemainder], vcc // 
v_cndmask_b32 v[\vQuotient], v[\vTmp1], v[\vQuotient], s[\sTmp:\sTmp+1] // 
v_cmp_ne_i32 vcc, 0x0, v[\vDivisor]                // 
v_cndmask_b32 v[\vQuotient], -1, v[\vQuotient], vcc // final result
v_mul_lo_u32 v[\vRemainder], v[\vQuotient], v[\vDivisor] // 
_v_sub_co_u32 v[\vRemainder], vcc, v[\vDividend], v[\vRemainder] // final result
.endm

/******************************************/
/* 16x16 thread-tile                      */
/******************************************/
.macro MAC_16x16_X0
// Component.MAC.FMA_F16_Packed
v_pk_fma_f16 v[vgprValuC + 0 + 0*16 + 0], v[vgprValuA_X0_I0 + 0], v[vgprValuB_X0_I0 + 0], v[vgprValuC + 0 + 0*16 + 0] op_sel:[0,0,0] op_sel_hi:[1,0,1] // 0
s_setprio 1 // Raise priority while processing macs
v_pk_fma_f16 v[vgprValuC + 0 + 0*16 + 8], v[vgprValuA_X0_I0 + 0], v[vgprValuB_X0_I0 + 0], v[vgprValuC + 0 + 0*16 + 8] op_sel:[0,1,0] op_sel_hi:[1,1,1] // 8
v_pk_fma_f16 v[vgprValuC + 1 + 0*16 + 0], v[vgprValuA_X0_I0 + 1], v[vgprValuB_X0_I0 + 0], v[vgprValuC + 1 + 0*16 + 0] op_sel:[0,0,0] op_sel_hi:[1,0,1] // 1
	;; [unrolled: 1-line block ×127, first 2 shown]
s_setprio 0 // Reset priority after macs
.endm
.macro MAC_16x16_X1
// Component.MAC.FMA_F16_Packed
v_pk_fma_f16 v[vgprValuC + 0 + 0*16 + 0], v[vgprValuA_X1_I0 + 0], v[vgprValuB_X1_I0 + 0], v[vgprValuC + 0 + 0*16 + 0] op_sel:[0,0,0] op_sel_hi:[1,0,1] // 0
s_setprio 1 // Raise priority while processing macs
v_pk_fma_f16 v[vgprValuC + 0 + 0*16 + 8], v[vgprValuA_X1_I0 + 0], v[vgprValuB_X1_I0 + 0], v[vgprValuC + 0 + 0*16 + 8] op_sel:[0,1,0] op_sel_hi:[1,1,1] // 8
v_pk_fma_f16 v[vgprValuC + 1 + 0*16 + 0], v[vgprValuA_X1_I0 + 1], v[vgprValuB_X1_I0 + 0], v[vgprValuC + 1 + 0*16 + 0] op_sel:[0,0,0] op_sel_hi:[1,0,1] // 1
	;; [unrolled: 1-line block ×127, first 2 shown]
s_setprio 0 // Reset priority after macs
.endm


	;; [unrolled: 1-line block ×3, first 2 shown]
/******************************************/
/* Allocate Resources                     */
/******************************************/

Cijk_Alik_Bljk_HB_MT256x256x32_SN_AF0EM2_AMAS3_ASEM2_BL1_DTLA0_DTLB0_EPS0_FL1_GLVWA8_GLVWB8_GRVW8_GSU5_ISA906_K1_KLA_LPA0_LPB4_LRVW4_MMFGLC_NLCA1_NLCB1_PGR0_PLR1_SUS256_TT16_16_USFGRO0_VAW2_VS1_VW4_VWB4_WS64_WG16_16_1_WGM8_preloaded: // Kernel start when preloading

/* Load Kernel Args */
_s_load_b512 s[28:43], s[sgprKernArgAddress:sgprKernArgAddress+1], 0x0 // 
_s_load_b512 s[44:59], s[sgprKernArgAddress:sgprKernArgAddress+1], 0x40 // 
s_mov_b32 m0, 0x8100                               // LDS clamp at 33024 bytes
v_mov_b32 v[vgprSerial], v0                        // thread serial id

/******************************************/
/* Local Read Addresses                   */
/******************************************/


/* local read addresses: tile assignments a/b */

/*lr0I = serial % SG0I*/
v_lshrrev_b32 v0, 4, v[vgprSerial]                 // v0 = v[vgprSerial] / 16
v_and_b32 v1, 15, v[vgprSerial]                    // v1 = v[vgprSerial] % 16
/*lr1J = (serial / SG1J) % SG1J*/
v_lshrrev_b32 v2, 4, v0                            // v2 = v0 / 16
v_and_b32 v3, 15, v0                               // v3 = v0 % 16


/* local read addresses: final offsets a */

v_lshrrev_b32 v0, 8, v[vgprSerial]                 // LSU offset: sgid = Serial / subGroup(256)
v_lshlrev_b32 v0, 0x8, v0                          // LSU offset: lsuoffset = sgid*(MT0+PAD)
v_lshlrev_b32 v1, 0x2, v1                          // Final Offset: lrAOffset * VW
_v_add_lshl_u32 v[vgprLocalReadAddrA], v0, v1, 0x1 // Final Offset: offset = (lro0*VW+lsuoffset)*bpe


/* local read addresses: final offsets b */

v_lshrrev_b32 v0, 8, v[vgprSerial]                 // LSU offset: sgid = Serial / subGroup(256)
s_mov_b32 s9, 0x104                                // LSU offset: lsuoffset = sgid*(MT1+PAD)
v_mul_lo_u32 v0, s9, v0                            // LSU offset: lsuoffset = sgid*(MT1+PAD)
v_lshlrev_b32 v3, 0x2, v3                          // Final Offset: lrBOffset * VW
_v_add_lshl_u32 v[vgprLocalReadAddrB], v0, v3, 0x1 // Final Offset: offset = (lro1*VW+lsuoffset)*bpe


/* local read addresses: declare addresses a */

/* N/A */


/* local read addresses: declare addresses b */

_v_add_co_u32 v[vgprLocalReadAddrB+0], vcc, 0x4000, v[vgprLocalReadAddrB+0] //  += LdsOffsetB (lower)


/* global read addresses: tile offset assignment a */

/* LVCA = 4 */
/* v0 = (local)groA-tile = serial/LVCA (note (wgA*MTA) will be added to SRD) */
/* v1 = groA-unroll = serial%LVCA */
v_lshrrev_b32 v0, 2, v[vgprSerial]                 // v0 = v[vgprSerial] / 4
v_and_b32 v1, 3, v[vgprSerial]                     // v1 = v[vgprSerial] % 4
/* gro-unroll *= glvw */
v_lshlrev_b32 v1, 0x3, v1                          // v1 = v1 * 8
v_mov_b32 v2, v1                                   // copy for GlobalSplitU


/* global read addresses: tile offset assignment b */

/* LVCB = 4 */
/* v3 = (local)groB-tile = serial/LVCB (note (wgB*MTB) will be added to SRD) */
/* v4 = groB-unroll = serial%LVCB */
v_lshrrev_b32 v3, 2, v[vgprSerial]                 // v3 = v[vgprSerial] / 4
v_and_b32 v4, 3, v[vgprSerial]                     // v4 = v[vgprSerial] % 4
/* gro-unroll *= glvw */
v_lshlrev_b32 v4, 0x3, v4                          // v4 = v4 * 8
v_mov_b32 v5, v4                                   // copy for GlobalSplitU


/******************************************/
/* Local Write Addresses                  */
/******************************************/

/* lwaTileAssignmentA = v0 */

/* lwaTileAssignmentB = v3 */

/* lwaUnrollAssignmentA = v2 */

/* lwaUnrollAssignmentB = v5 */


/* local write addresses: first offset a */

v_mul_u32_u24 v[vgprLocalWriteAddrA], 0x100, v2    // lwAL**(MTA + PAD)
_v_add_lshl_u32 v[vgprLocalWriteAddrA], v0, v[vgprLocalWriteAddrA], 0x1 // lwFOA = (lwAA + lwAL*(MT0I+PAD))*bpe


/* local write addresses: first offset b */

v_mul_u32_u24 v[vgprLocalWriteAddrB], 0x104, v5    // lwBL**(MTB + PAD)
_v_add_lshl_u32 v[vgprLocalWriteAddrB], v3, v[vgprLocalWriteAddrB], 0x1 // lwFOB = (lwBB + lwBL*(MT1J+PAD))*bpe
_v_add_co_u32 v[vgprLocalWriteAddrB], vcc, 0x4000, v[vgprLocalWriteAddrB] // lwFOB = lwB1J + lwBL*MT1J + LDS_OFFSET_B=8192*2


	;; [unrolled: 1-line block ×7, first 2 shown]
s_waitcnt lgkmcnt(0)                               // wait for 128 bytes of kern args
s_sub_u32 s[sgprSrdA+0], s[sgprAddressA+0], 16     // pre-pad to make room for possible pointer shift
s_subb_u32 s[sgprSrdA+1], s[sgprAddressA+1], 0     // pre-pad to make room for possible pointer shift
s_sub_u32 s[sgprSrdB+0], s[sgprAddressB+0], 16     // pre-pad to make room for possible pointer shift
s_subb_u32 s[sgprSrdB+1], s[sgprAddressB+1], 0     // pre-pad to make room for possible pointer shift

.set AddressA, UNDEF
.set AddressB, UNDEF

/* Short circuit condition if Alpha == 0, then sumDims=0 */
v_cmp_eq_f32 vcc, s[sgprAlpha], 0.0                // Alpha == 0.0f ?
s_cbranch_vccz label_AlphaNonZero                  // branch if alpha != 0
s_mov_b32 s[sgprSizesSum+0], 0x0                   // Set summation dim=0 if Alpha == 0
label_AlphaNonZero:


	;; [unrolled: 1-line block ×3, first 2 shown]
/******************************************/
/* Begin setupNewTile, isPap=False           */
/******************************************/


/* global read addresses: work-group */

/* graWorkGroup mapping */
// GSU-not-WGMapRR :nwg1 = (size1J + MT1J - 1) / MT1J;
s_mov_b32 s66, s[sgprWorkGroup1]                   // copying for divisor
s_mov_b32 s65, 0x0                                 // STATIC_DIV: divisior=5
s_mul_i32 s64, 0x6666, s66                         // tmp1 = dividend * magic hi
s_lshl_b64 s[64:65], s[64:65], 0x10                // left shift 16 bits
s_mul_i32 s[sgprWorkGroup1], s66, 0x6667           // tmp0 = dividend * magic lo
s_add_u32 s64, s[sgprWorkGroup1], s64              // add lo
s_addc_u32 s65, s65, 0x0                           // add hi
s_lshr_b64 s[64:65], s[64:65], 0x21                // tmp1 = (dividend * magic) << shift
s_mov_b32 s[sgprWorkGroup1], s64                   // quotient
s_mul_i32 s64, s[sgprWorkGroup1], 0x5              // quotient*divisor
s_sub_u32 s[sgprGSUSumIdx], s66, s64               // rReg = dividend - quotient*divisor
s_mov_b32 s67, 0x10000001L                         // magic number for WGM==8
s_mul_hi_u32 s65, s[sgprWorkGroup1], s67           // s_magic mul
s_mul_i32 s64, s[sgprWorkGroup1], s67              // s_magic mul
s_lshr_b64 s[64:65], s[64:65], 31                  // sMagicDiv
s_mul_i32 s65, s64, 8                              // quotient * non-magic divisor
s_sub_u32 s65, s[sgprWorkGroup1], s65              // WorkGroup1=remainder
s_mul_i32 s65, s65, s[sgprNumWorkGroups0]          // (wg1 % WGM)*nwg0
s_add_u32 s65, s65, s[sgprWorkGroup0]              // wgSerial = wg0 + (wg1 % WGM)*nwg1
s_cmp_ge_u32 s64, s[sgprNumFullBlocks]             // blockId >= numFullBlocks ?
s_cmov_b32 s67, s[sgprMagicNumberWgmRemainder1]    // 
s_cselect_b32 s66, s[sgprWgmRemainder1], 8         // 
s_mul_hi_u32 s3, s65, s67                          // s_magic mul
s_mul_i32 s2, s65, s67                             // s_magic mul
s_lshr_b64 s[2:3], s[2:3], 31                      // sMagicDiv
s_mul_i32 s[sgprWorkGroup1], s[sgprWorkGroup0], s66 // quotient * non-magic divisor
s_sub_u32 s[sgprWorkGroup1], s65, s[sgprWorkGroup1] // WorkGroup1=remainder
s_mul_i32 s64, s64, 8                              // blockId * WGM
s_add_u32 s[sgprWorkGroup1], s[sgprWorkGroup1], s64 // wg1 += blockId * WGM


/* global read addresses: unroll assignment a */

/* v1 */


/* global read addresses: unroll assignment b */

/* v4 */


/* global read addresses: other free assignments */

/* s[sgprWorkGroup2] */


/* global read addresses: tile offsets a */

v_mov_b32 v6, v0                                   // groA0I_0
_v_add_co_u32 v7, vcc, 64, v6                      // groA0I_1 += LSPA
_v_add_co_u32 v8, vcc, 64, v7                      // groA0I_2 += LSPA
_v_add_co_u32 v9, vcc, 64, v8                      // groA0I_3 += LSPA


/* global read addresses: tile offsets b */

v_mov_b32 v10, v3                                  // groB1J_0
_v_add_co_u32 v11, vcc, 64, v10                    // groB1J_1 += LSPB
_v_add_co_u32 v12, vcc, 64, v11                    // groB1J_2 += LSPB
_v_add_co_u32 v13, vcc, 64, v12                    // groB1J_3 += LSPB


/* global read addresses: unroll offsets a */

v_mov_b32 v14, v1                                  // groAL_0


/* global read addresses: unroll offsets b */

v_mov_b32 v15, v4                                  // groBL_0


/* global read addresses: final offsets a */

GLOBAL_OFFSET_A vgprGlobalReadOffsetA+0, 14,  6, 16 // gROA_0_0_0_0
GLOBAL_OFFSET_A vgprGlobalReadOffsetA+1, 14,  7, 16 // gROA_0_0_1_0
GLOBAL_OFFSET_A vgprGlobalReadOffsetA+2, 14,  8, 16 // gROA_0_0_2_0
GLOBAL_OFFSET_A vgprGlobalReadOffsetA+3, 14,  9, 16 // gROA_0_0_3_0


/* global read addresses: final offsets b */

GLOBAL_OFFSET_B vgprGlobalReadOffsetB+0, 15, 10, 6 // gROB_0_0_0_0
GLOBAL_OFFSET_B vgprGlobalReadOffsetB+1, 15, 11, 6 // gROB_0_0_1_0
GLOBAL_OFFSET_B vgprGlobalReadOffsetB+2, 15, 12, 6 // gROB_0_0_2_0
GLOBAL_OFFSET_B vgprGlobalReadOffsetB+3, 15, 13, 6 // gROB_0_0_3_0


/* global read addresses: addresses a */

/* max read offset = size[n] * stride[n-1] */
s_mul_hi_u32 s67, s[sgprWorkGroup0], 256           // WorkGroup[01] * MT
s_mul_i32 s66, s[sgprWorkGroup0], 256              // WorkGroup[01] * MT
s_mul_hi_u32 s67, s66, s[sgprStrideA0I]            // tlu=0, scaled tile-offset by stride
s_mul_i32 s66, s66, s[sgprStrideA0I]               // tlu=0, scaled tile-offset by stride
s_mul_hi_u32 s65, 32, s[sgprGSUSumIdx]             // gsuOffset = DepthU*bpe*GSUSumIdx
s_mul_i32 s64, 32, s[sgprGSUSumIdx]                // gsuOffset = DepthU*bpe*GSUSumIdx
s_add_u32 s66, s66, s64                            // accum GsuOffset term to tilestart
s_addc_u32 s67, s67, s65                           // accum GsuOffset term to tilestart
s_sub_u32 s[sgprShadowLimitA+0], s[sgprTensor2dSizeA], s66 // sub tileStart
s_subb_u32 s[sgprShadowLimitA+1], s[sgprTensor2dSizeA+1], s67 // sub tileStart
s_lshl_b64 s[sgprShadowLimitA:sgprShadowLimitA+1], s[sgprShadowLimitA:sgprShadowLimitA+1], 0x1 // Set limit to use bytes
s_add_u32 s[sgprShadowLimitA+0], s[sgprShadowLimitA+0], 16 // extend limit for pre-pad
s_addc_u32 s[sgprShadowLimitA+1], s[sgprShadowLimitA+1], 0 // extend limit for pre-pad
s_cmp_eq_u32 s[sgprShadowLimitA+1], 0              // are we within 2^32?
s_cselect_b32 s[sgprSrdA+2], s[sgprShadowLimitA+0], BufferLimitA // Move shadow to real if we are within 2^32
s_mul_hi_u32 s65, s[sgprStrideAK], s[sgprWorkGroup2] // Stride*WG
s_mul_i32 s64, s[sgprStrideAK], s[sgprWorkGroup2]  // Stride*WG
s_add_u32 s66, s66, s64                            // accum wg term to tilestart
s_addc_u32 s67, s67, s65                           // accum wg term to tilestart
s_lshl_b64 s[66:67], s[66:67], 0x1                 // tileStart *= BPE
s_add_u32 s[sgprSrdA+0], s[sgprSrdA+0], s66        // SRD base = Address+ tileStart0
s_addc_u32 s[sgprSrdA+1], s[sgprSrdA+1], s67       // SRD base = Address+ tileStart1
s_mov_b32 s[sgprSrdA+3], Srd127_96                 // Set bits 127_96 in SRD


/* global read addresses: addresses b */

/* max read offset = size[n] * stride[n-1] */
s_mul_hi_u32 s67, s[sgprWorkGroup1], 256           // WorkGroup[01] * MT
s_mul_i32 s66, s[sgprWorkGroup1], 256              // WorkGroup[01] * MT
s_mul_hi_u32 s67, s66, s[sgprStrideB1J]            // tlu=0, scaled tile-offset by stride
s_mul_i32 s66, s66, s[sgprStrideB1J]               // tlu=0, scaled tile-offset by stride
s_mul_hi_u32 s65, 32, s[sgprGSUSumIdx]             // gsuOffset = DepthU*bpe*GSUSumIdx
s_mul_i32 s64, 32, s[sgprGSUSumIdx]                // gsuOffset = DepthU*bpe*GSUSumIdx
s_add_u32 s66, s66, s64                            // accum GsuOffset term to tilestart
s_addc_u32 s67, s67, s65                           // accum GsuOffset term to tilestart
s_sub_u32 s[sgprShadowLimitB+0], s[sgprTensor2dSizeB], s66 // sub tileStart
s_subb_u32 s[sgprShadowLimitB+1], s[sgprTensor2dSizeB+1], s67 // sub tileStart
s_lshl_b64 s[sgprShadowLimitB:sgprShadowLimitB+1], s[sgprShadowLimitB:sgprShadowLimitB+1], 0x1 // Set limit to use bytes
s_add_u32 s[sgprShadowLimitB+0], s[sgprShadowLimitB+0], 16 // extend limit for pre-pad
s_addc_u32 s[sgprShadowLimitB+1], s[sgprShadowLimitB+1], 0 // extend limit for pre-pad
s_cmp_eq_u32 s[sgprShadowLimitB+1], 0              // are we within 2^32?
s_cselect_b32 s[sgprSrdB+2], s[sgprShadowLimitB+0], BufferLimitB // Move shadow to real if we are within 2^32
s_mul_hi_u32 s65, s[sgprStrideBK], s[sgprWorkGroup2] // Stride*WG
s_mul_i32 s64, s[sgprStrideBK], s[sgprWorkGroup2]  // Stride*WG
s_add_u32 s66, s66, s64                            // accum wg term to tilestart
s_addc_u32 s67, s67, s65                           // accum wg term to tilestart
s_lshl_b64 s[66:67], s[66:67], 0x1                 // tileStart *= BPE
s_add_u32 s[sgprSrdB+0], s[sgprSrdB+0], s66        // SRD base = Address+ tileStart0
s_addc_u32 s[sgprSrdB+1], s[sgprSrdB+1], s67       // SRD base = Address+ tileStart1
s_mov_b32 s[sgprSrdB+3], Srd127_96                 // Set bits 127_96 in SRD


/* global read addresses: increments a */

s_mov_b32 s[sgprGlobalReadIncsA+0], DepthU*BpeA*5  // incrA (unrollIdx)


/* global read addresses: increments b */

s_mov_b32 s[sgprGlobalReadIncsB+0], DepthU*BpeB*5  // incrB (unrollIdx)

/* declare loop num iterations */


	;; [unrolled: 1-line block ×3, first 2 shown]
/* initC: remove C-tile 0-128 from pool */

/* initC: remove AB-tile 128-160 from pool */
v_mov_b32 v[vgprValuC+0], 0x0                      // initC
v_mov_b32 v[vgprValuC+1], 0x0                      // initC
	;; [unrolled: 1-line block ×10, first 2 shown]
v_mov_b32 v[vgprValuC+10], 0x0                     // initC
v_mov_b32 v[vgprValuC+11], 0x0                     // initC
	;; [unrolled: 1-line block ×90, first 2 shown]
v_mov_b32 v[vgprValuC+100], 0x0                    // initC
v_mov_b32 v[vgprValuC+101], 0x0                    // initC
	;; [unrolled: 1-line block ×28, first 2 shown]

s_lshr_b32 s[sgprLoopCounterL], s[sgprSizesSum+0], 5 // s[sgprLoopCounterL] = s[sgprSizesSum+0] / 32
v_mov_b32 v175, s[sgprLoopCounterL]                // copy for divide IterGsu
s_mov_b32 s64, 0x66666667                          // v173 = v175 / 5
v_mul_hi_u32 v173, v175, s64                       // v173 = v175 / 5
v_lshrrev_b32 v173, 0x1, v173                      // v173 = v175 / 5
s_mov_b32 s64, 0x5                                 // v174 = v175 % 5
v_mul_lo_u32 v174, v173, s64                       // v174 = v175 % 5
_v_sub_u32 v174, v175, v174                        // v174 = v175 % 5
v_readfirstlane_b32 s[sgprLoopCounterL], v173      // 
v_readfirstlane_b32 s[sgprGSUSumIdx+1], v174       // 
s_add_u32 s64, 1, s[sgprLoopCounterL]              // tmp<-numIterMyWg+
s_cmp_lt_u32 s[sgprGSUSumIdx], s[sgprGSUSumIdx+1]  // gsuSumIdx < numIterPerWgRemainder
s_cmov_b32 s[sgprLoopCounterL], s64                // numIterMyWg++ if needed
s_mov_b32 s[sgprOrigLoopCounter], s[sgprLoopCounterL] // copy loop counter

s_and_b32 s[sgprStaggerUIter], s[sgprOrigStaggerUIter], s[sgprWorkGroup0] // Compute actual stagger start for this tile
s_lshl_b32 s[sgprStaggerUIter], s[sgprStaggerUIter], 2 // shift by StaggerUStride


/* SRDs += (StaggerUIter) * GlobalReadIncsA+0 */
s_mul_hi_u32 s65, s[sgprStaggerUIter], s[sgprGlobalReadIncsA+0] //  stagger byte offset
s_mul_i32 s64, s[sgprStaggerUIter], s[sgprGlobalReadIncsA+0] //  stagger byte offset
s_mul_hi_u32 s[sgprWrapUA+1], s[sgprLoopCounterL], s[sgprGlobalReadIncsA+0] // Number of bytes accessed by the unroll loop
s_mul_i32 s[sgprWrapUA+0], s[sgprLoopCounterL], s[sgprGlobalReadIncsA+0] // Number of bytes accessed by the unroll loop
s_sub_u32 s[sgprWrapUA+0], s[sgprGlobalReadIncsA+0], s[sgprWrapUA+0] // remove one iteration
s_subb_u32 s[sgprWrapUA+1], 0, s[sgprWrapUA+1]     // remove one iteration
s_add_u32 s[sgprSrdA+0], s[sgprSrdA+0], s64        // gra SRD += inc(lower)
s_addc_u32  s[sgprSrdA+1], s[sgprSrdA+1], s65      // gra SRD += inc(upper)
s_sub_u32 s[sgprShadowLimitA+0], s[sgprShadowLimitA+0], s64 // limit -= inc)
s_subb_u32 s[sgprShadowLimitA+1], s[sgprShadowLimitA+1], s65 // limit -= inc)
s_cmp_eq_u32 s[sgprShadowLimitA+1], 0              // are we within 2^32?
s_cselect_b32 s[sgprSrdA+2], s[sgprShadowLimitA+0], BufferLimitA // Move shadow to real if we are within 2^32


/* SRDs += (StaggerUIter) * GlobalReadIncsB+0 */
s_mul_hi_u32 s65, s[sgprStaggerUIter], s[sgprGlobalReadIncsB+0] //  stagger byte offset
s_mul_i32 s64, s[sgprStaggerUIter], s[sgprGlobalReadIncsB+0] //  stagger byte offset
s_mul_hi_u32 s[sgprWrapUB+1], s[sgprLoopCounterL], s[sgprGlobalReadIncsB+0] // Number of bytes accessed by the unroll loop
s_mul_i32 s[sgprWrapUB+0], s[sgprLoopCounterL], s[sgprGlobalReadIncsB+0] // Number of bytes accessed by the unroll loop
s_sub_u32 s[sgprWrapUB+0], s[sgprGlobalReadIncsB+0], s[sgprWrapUB+0] // remove one iteration
s_subb_u32 s[sgprWrapUB+1], 0, s[sgprWrapUB+1]     // remove one iteration
s_add_u32 s[sgprSrdB+0], s[sgprSrdB+0], s64        // gra SRD += inc(lower)
s_addc_u32  s[sgprSrdB+1], s[sgprSrdB+1], s65      // gra SRD += inc(upper)
s_sub_u32 s[sgprShadowLimitB+0], s[sgprShadowLimitB+0], s64 // limit -= inc)
s_subb_u32 s[sgprShadowLimitB+1], s[sgprShadowLimitB+1], s65 // limit -= inc)
s_cmp_eq_u32 s[sgprShadowLimitB+1], 0              // are we within 2^32?
s_cselect_b32 s[sgprSrdB+2], s[sgprShadowLimitB+0], BufferLimitB // Move shadow to real if we are within 2^32
s_add_u32 s[sgprStaggerUIter], s[sgprStaggerUIter], 1 // Subtract (PGR-1); StaggerUIter now contains target iteration to wrap

/* local read addresses: init pointers a */


/* localReadInitPointers */

/* local read addresses: init pointers b */


/* localReadInitPointers */


/******************************************/
/* End setupNewTile, isPap=False             */
/******************************************/


/******************************************/
/* Unrolled Loop(s) - Begin               */
/******************************************/

openLoopL_10:
s_cmp_le_u32 s[sgprLoopCounterL], 0x0              // LoopCounterL < EndCounter
s_cbranch_scc1 LoopEndL_2                          // do not enter LoopL
LoopBeginL_1:


/******************************************/
/* Unrolled Loop 1/1 - Begin              */
/******************************************/

label_0011: // LoopCopy1 


/* Begin Each Unroll: Check VGPR.checkin for INT8 LW */

_buffer_load_b128 v[vgprG2LA+0:vgprG2LA+0+3], v[vgprGlobalReadOffsetA+0], s[sgprSrdA:sgprSrdA+3], 0, offen offset:0 // G -> Reg 0_0_0_0
_buffer_load_b128 v[vgprG2LA+4:vgprG2LA+4+3], v[vgprGlobalReadOffsetA+1], s[sgprSrdA:sgprSrdA+3], 0, offen offset:0 // G -> Reg 0_0_1_0
_buffer_load_b128 v[vgprG2LA+8:vgprG2LA+8+3], v[vgprGlobalReadOffsetA+2], s[sgprSrdA:sgprSrdA+3], 0, offen offset:0 // G -> Reg 0_0_2_0
_buffer_load_b128 v[vgprG2LA+12:vgprG2LA+12+3], v[vgprGlobalReadOffsetA+3], s[sgprSrdA:sgprSrdA+3], 0, offen offset:0 // G -> Reg 0_0_3_0
_buffer_load_b128 v[vgprG2LB+0:vgprG2LB+0+3], v[vgprGlobalReadOffsetB+0], s[sgprSrdB:sgprSrdB+3], 0, offen offset:0 // G -> Reg 0_0_0_0
_buffer_load_b128 v[vgprG2LB+4:vgprG2LB+4+3], v[vgprGlobalReadOffsetB+1], s[sgprSrdB:sgprSrdB+3], 0, offen offset:0 // G -> Reg 0_0_1_0
_buffer_load_b128 v[vgprG2LB+8:vgprG2LB+8+3], v[vgprGlobalReadOffsetB+2], s[sgprSrdB:sgprSrdB+3], 0, offen offset:0 // G -> Reg 0_0_2_0
_buffer_load_b128 v[vgprG2LB+12:vgprG2LB+12+3], v[vgprGlobalReadOffsetB+3], s[sgprSrdB:sgprSrdB+3], 0, offen offset:0 // G -> Reg 0_0_3_0

/* global read inc A loopL */
s_cmp_eq_u32 s[sgprLoopCounterL], s[sgprStaggerUIter] // Is this the wrapIter?
s_cselect_b32 s64, s[sgprWrapUA+0], s[sgprGlobalReadIncsA+0] // incLower <- ?
s_cselect_b32 s65, s[sgprWrapUA+1], 0              // incUpper <- ?
s_add_u32 s[sgprSrdA+0], s[sgprSrdA+0], s64        // gra SRD += inc(lower)
s_addc_u32  s[sgprSrdA+1], s[sgprSrdA+1], s65      // gra SRD += inc(upper)
s_sub_u32 s[sgprShadowLimitA+0], s[sgprShadowLimitA+0], s64 // limit -= inc)
s_subb_u32 s[sgprShadowLimitA+1], s[sgprShadowLimitA+1], s65 // limit -= inc)
s_cmp_eq_u32 s[sgprShadowLimitA+1], 0              // are we within 2^32?
s_cselect_b32 s[sgprSrdA+2], s[sgprShadowLimitA+0], BufferLimitA // Move shadow to real if we are within 2^32

/* global read inc B loopL */
s_cmp_eq_u32 s[sgprLoopCounterL], s[sgprStaggerUIter] // Is this the wrapIter?
s_cselect_b32 s64, s[sgprWrapUB+0], s[sgprGlobalReadIncsB+0] // incLower <- ?
s_cselect_b32 s65, s[sgprWrapUB+1], 0              // incUpper <- ?
s_add_u32 s[sgprSrdB+0], s[sgprSrdB+0], s64        // gra SRD += inc(lower)
s_addc_u32  s[sgprSrdB+1], s[sgprSrdB+1], s65      // gra SRD += inc(upper)
s_sub_u32 s[sgprShadowLimitB+0], s[sgprShadowLimitB+0], s64 // limit -= inc)
s_subb_u32 s[sgprShadowLimitB+1], s[sgprShadowLimitB+1], s65 // limit -= inc)
s_cmp_eq_u32 s[sgprShadowLimitB+1], 0              // are we within 2^32?
s_cselect_b32 s[sgprSrdB+2], s[sgprShadowLimitB+0], BufferLimitB // Move shadow to real if we are within 2^32

s_waitcnt vmcnt(0)                                 // lgkmcnt=-1 vmcnt=05wait for global read

s_barrier //PGR=0, prior iter done reading lds


/* local write a */

_ds_store_b16 v[vgprLocalWriteAddrA], v[vgprG2LA+0:vgprG2LA+0+0] offset:0 // lwoA_0_0_0_0 = (0 + 0*LSCA)*(MT0I+PAD) + (0*LSPA) = 0
_ds_store_b16_d16_hi v[vgprLocalWriteAddrA], v[vgprG2LA+0:vgprG2LA+0+0] offset:512 // lwoA_0_1_0_0 = (1 + 0*LSCA)*(MT0I+PAD) + (0*LSPA) = 512
_ds_store_b16 v[vgprLocalWriteAddrA], v[vgprG2LA+1:vgprG2LA+1+0] offset:1024 // lwoA_0_2_0_0 = (2 + 0*LSCA)*(MT0I+PAD) + (0*LSPA) = 1024
_ds_store_b16_d16_hi v[vgprLocalWriteAddrA], v[vgprG2LA+1:vgprG2LA+1+0] offset:1536 // lwoA_0_3_0_0 = (3 + 0*LSCA)*(MT0I+PAD) + (0*LSPA) = 1536
_ds_store_b16 v[vgprLocalWriteAddrA], v[vgprG2LA+2:vgprG2LA+2+0] offset:2048 // lwoA_0_4_0_0 = (4 + 0*LSCA)*(MT0I+PAD) + (0*LSPA) = 2048
_ds_store_b16_d16_hi v[vgprLocalWriteAddrA], v[vgprG2LA+2:vgprG2LA+2+0] offset:2560 // lwoA_0_5_0_0 = (5 + 0*LSCA)*(MT0I+PAD) + (0*LSPA) = 2560
_ds_store_b16 v[vgprLocalWriteAddrA], v[vgprG2LA+3:vgprG2LA+3+0] offset:3072 // lwoA_0_6_0_0 = (6 + 0*LSCA)*(MT0I+PAD) + (0*LSPA) = 3072
_ds_store_b16_d16_hi v[vgprLocalWriteAddrA], v[vgprG2LA+3:vgprG2LA+3+0] offset:3584 // lwoA_0_7_0_0 = (7 + 0*LSCA)*(MT0I+PAD) + (0*LSPA) = 3584
_ds_store_b16 v[vgprLocalWriteAddrA], v[vgprG2LA+4:vgprG2LA+4+0] offset:128 // lwoA_0_0_1_0 = (0 + 0*LSCA)*(MT0I+PAD) + (1*LSPA) = 128
_ds_store_b16_d16_hi v[vgprLocalWriteAddrA], v[vgprG2LA+4:vgprG2LA+4+0] offset:640 // lwoA_0_1_1_0 = (1 + 0*LSCA)*(MT0I+PAD) + (1*LSPA) = 640
_ds_store_b16 v[vgprLocalWriteAddrA], v[vgprG2LA+5:vgprG2LA+5+0] offset:1152 // lwoA_0_2_1_0 = (2 + 0*LSCA)*(MT0I+PAD) + (1*LSPA) = 1152
_ds_store_b16_d16_hi v[vgprLocalWriteAddrA], v[vgprG2LA+5:vgprG2LA+5+0] offset:1664 // lwoA_0_3_1_0 = (3 + 0*LSCA)*(MT0I+PAD) + (1*LSPA) = 1664
_ds_store_b16 v[vgprLocalWriteAddrA], v[vgprG2LA+6:vgprG2LA+6+0] offset:2176 // lwoA_0_4_1_0 = (4 + 0*LSCA)*(MT0I+PAD) + (1*LSPA) = 2176
_ds_store_b16_d16_hi v[vgprLocalWriteAddrA], v[vgprG2LA+6:vgprG2LA+6+0] offset:2688 // lwoA_0_5_1_0 = (5 + 0*LSCA)*(MT0I+PAD) + (1*LSPA) = 2688
_ds_store_b16 v[vgprLocalWriteAddrA], v[vgprG2LA+7:vgprG2LA+7+0] offset:3200 // lwoA_0_6_1_0 = (6 + 0*LSCA)*(MT0I+PAD) + (1*LSPA) = 3200
_ds_store_b16_d16_hi v[vgprLocalWriteAddrA], v[vgprG2LA+7:vgprG2LA+7+0] offset:3712 // lwoA_0_7_1_0 = (7 + 0*LSCA)*(MT0I+PAD) + (1*LSPA) = 3712
_ds_store_b16 v[vgprLocalWriteAddrA], v[vgprG2LA+8:vgprG2LA+8+0] offset:256 // lwoA_0_0_2_0 = (0 + 0*LSCA)*(MT0I+PAD) + (2*LSPA) = 256
_ds_store_b16_d16_hi v[vgprLocalWriteAddrA], v[vgprG2LA+8:vgprG2LA+8+0] offset:768 // lwoA_0_1_2_0 = (1 + 0*LSCA)*(MT0I+PAD) + (2*LSPA) = 768
_ds_store_b16 v[vgprLocalWriteAddrA], v[vgprG2LA+9:vgprG2LA+9+0] offset:1280 // lwoA_0_2_2_0 = (2 + 0*LSCA)*(MT0I+PAD) + (2*LSPA) = 1280
_ds_store_b16_d16_hi v[vgprLocalWriteAddrA], v[vgprG2LA+9:vgprG2LA+9+0] offset:1792 // lwoA_0_3_2_0 = (3 + 0*LSCA)*(MT0I+PAD) + (2*LSPA) = 1792
_ds_store_b16 v[vgprLocalWriteAddrA], v[vgprG2LA+10:vgprG2LA+10+0] offset:2304 // lwoA_0_4_2_0 = (4 + 0*LSCA)*(MT0I+PAD) + (2*LSPA) = 2304
_ds_store_b16_d16_hi v[vgprLocalWriteAddrA], v[vgprG2LA+10:vgprG2LA+10+0] offset:2816 // lwoA_0_5_2_0 = (5 + 0*LSCA)*(MT0I+PAD) + (2*LSPA) = 2816
_ds_store_b16 v[vgprLocalWriteAddrA], v[vgprG2LA+11:vgprG2LA+11+0] offset:3328 // lwoA_0_6_2_0 = (6 + 0*LSCA)*(MT0I+PAD) + (2*LSPA) = 3328
_ds_store_b16_d16_hi v[vgprLocalWriteAddrA], v[vgprG2LA+11:vgprG2LA+11+0] offset:3840 // lwoA_0_7_2_0 = (7 + 0*LSCA)*(MT0I+PAD) + (2*LSPA) = 3840
_ds_store_b16 v[vgprLocalWriteAddrA], v[vgprG2LA+12:vgprG2LA+12+0] offset:384 // lwoA_0_0_3_0 = (0 + 0*LSCA)*(MT0I+PAD) + (3*LSPA) = 384
_ds_store_b16_d16_hi v[vgprLocalWriteAddrA], v[vgprG2LA+12:vgprG2LA+12+0] offset:896 // lwoA_0_1_3_0 = (1 + 0*LSCA)*(MT0I+PAD) + (3*LSPA) = 896
_ds_store_b16 v[vgprLocalWriteAddrA], v[vgprG2LA+13:vgprG2LA+13+0] offset:1408 // lwoA_0_2_3_0 = (2 + 0*LSCA)*(MT0I+PAD) + (3*LSPA) = 1408
_ds_store_b16_d16_hi v[vgprLocalWriteAddrA], v[vgprG2LA+13:vgprG2LA+13+0] offset:1920 // lwoA_0_3_3_0 = (3 + 0*LSCA)*(MT0I+PAD) + (3*LSPA) = 1920
_ds_store_b16 v[vgprLocalWriteAddrA], v[vgprG2LA+14:vgprG2LA+14+0] offset:2432 // lwoA_0_4_3_0 = (4 + 0*LSCA)*(MT0I+PAD) + (3*LSPA) = 2432
_ds_store_b16_d16_hi v[vgprLocalWriteAddrA], v[vgprG2LA+14:vgprG2LA+14+0] offset:2944 // lwoA_0_5_3_0 = (5 + 0*LSCA)*(MT0I+PAD) + (3*LSPA) = 2944
_ds_store_b16 v[vgprLocalWriteAddrA], v[vgprG2LA+15:vgprG2LA+15+0] offset:3456 // lwoA_0_6_3_0 = (6 + 0*LSCA)*(MT0I+PAD) + (3*LSPA) = 3456
_ds_store_b16_d16_hi v[vgprLocalWriteAddrA], v[vgprG2LA+15:vgprG2LA+15+0] offset:3968 // lwoA_0_7_3_0 = (7 + 0*LSCA)*(MT0I+PAD) + (3*LSPA) = 3968


/* local write b */

_ds_store_b16 v[vgprLocalWriteAddrB], v[vgprG2LB+0:vgprG2LB+0+0] offset:0 // lwoB_0_0_0_0 = (0 + 0*LSCB)*(MT1J+PAD) + (0*LSPB) = 0
_ds_store_b16_d16_hi v[vgprLocalWriteAddrB], v[vgprG2LB+0:vgprG2LB+0+0] offset:520 // lwoB_0_1_0_0 = (1 + 0*LSCB)*(MT1J+PAD) + (0*LSPB) = 520
_ds_store_b16 v[vgprLocalWriteAddrB], v[vgprG2LB+1:vgprG2LB+1+0] offset:1040 // lwoB_0_2_0_0 = (2 + 0*LSCB)*(MT1J+PAD) + (0*LSPB) = 1040
_ds_store_b16_d16_hi v[vgprLocalWriteAddrB], v[vgprG2LB+1:vgprG2LB+1+0] offset:1560 // lwoB_0_3_0_0 = (3 + 0*LSCB)*(MT1J+PAD) + (0*LSPB) = 1560
_ds_store_b16 v[vgprLocalWriteAddrB], v[vgprG2LB+2:vgprG2LB+2+0] offset:2080 // lwoB_0_4_0_0 = (4 + 0*LSCB)*(MT1J+PAD) + (0*LSPB) = 2080
_ds_store_b16_d16_hi v[vgprLocalWriteAddrB], v[vgprG2LB+2:vgprG2LB+2+0] offset:2600 // lwoB_0_5_0_0 = (5 + 0*LSCB)*(MT1J+PAD) + (0*LSPB) = 2600
_ds_store_b16 v[vgprLocalWriteAddrB], v[vgprG2LB+3:vgprG2LB+3+0] offset:3120 // lwoB_0_6_0_0 = (6 + 0*LSCB)*(MT1J+PAD) + (0*LSPB) = 3120
_ds_store_b16_d16_hi v[vgprLocalWriteAddrB], v[vgprG2LB+3:vgprG2LB+3+0] offset:3640 // lwoB_0_7_0_0 = (7 + 0*LSCB)*(MT1J+PAD) + (0*LSPB) = 3640
_ds_store_b16 v[vgprLocalWriteAddrB], v[vgprG2LB+4:vgprG2LB+4+0] offset:128 // lwoB_0_0_1_0 = (0 + 0*LSCB)*(MT1J+PAD) + (1*LSPB) = 128
_ds_store_b16_d16_hi v[vgprLocalWriteAddrB], v[vgprG2LB+4:vgprG2LB+4+0] offset:648 // lwoB_0_1_1_0 = (1 + 0*LSCB)*(MT1J+PAD) + (1*LSPB) = 648
_ds_store_b16 v[vgprLocalWriteAddrB], v[vgprG2LB+5:vgprG2LB+5+0] offset:1168 // lwoB_0_2_1_0 = (2 + 0*LSCB)*(MT1J+PAD) + (1*LSPB) = 1168
_ds_store_b16_d16_hi v[vgprLocalWriteAddrB], v[vgprG2LB+5:vgprG2LB+5+0] offset:1688 // lwoB_0_3_1_0 = (3 + 0*LSCB)*(MT1J+PAD) + (1*LSPB) = 1688
_ds_store_b16 v[vgprLocalWriteAddrB], v[vgprG2LB+6:vgprG2LB+6+0] offset:2208 // lwoB_0_4_1_0 = (4 + 0*LSCB)*(MT1J+PAD) + (1*LSPB) = 2208
_ds_store_b16_d16_hi v[vgprLocalWriteAddrB], v[vgprG2LB+6:vgprG2LB+6+0] offset:2728 // lwoB_0_5_1_0 = (5 + 0*LSCB)*(MT1J+PAD) + (1*LSPB) = 2728
_ds_store_b16 v[vgprLocalWriteAddrB], v[vgprG2LB+7:vgprG2LB+7+0] offset:3248 // lwoB_0_6_1_0 = (6 + 0*LSCB)*(MT1J+PAD) + (1*LSPB) = 3248
_ds_store_b16_d16_hi v[vgprLocalWriteAddrB], v[vgprG2LB+7:vgprG2LB+7+0] offset:3768 // lwoB_0_7_1_0 = (7 + 0*LSCB)*(MT1J+PAD) + (1*LSPB) = 3768
_ds_store_b16 v[vgprLocalWriteAddrB], v[vgprG2LB+8:vgprG2LB+8+0] offset:256 // lwoB_0_0_2_0 = (0 + 0*LSCB)*(MT1J+PAD) + (2*LSPB) = 256
_ds_store_b16_d16_hi v[vgprLocalWriteAddrB], v[vgprG2LB+8:vgprG2LB+8+0] offset:776 // lwoB_0_1_2_0 = (1 + 0*LSCB)*(MT1J+PAD) + (2*LSPB) = 776
_ds_store_b16 v[vgprLocalWriteAddrB], v[vgprG2LB+9:vgprG2LB+9+0] offset:1296 // lwoB_0_2_2_0 = (2 + 0*LSCB)*(MT1J+PAD) + (2*LSPB) = 1296
_ds_store_b16_d16_hi v[vgprLocalWriteAddrB], v[vgprG2LB+9:vgprG2LB+9+0] offset:1816 // lwoB_0_3_2_0 = (3 + 0*LSCB)*(MT1J+PAD) + (2*LSPB) = 1816
_ds_store_b16 v[vgprLocalWriteAddrB], v[vgprG2LB+10:vgprG2LB+10+0] offset:2336 // lwoB_0_4_2_0 = (4 + 0*LSCB)*(MT1J+PAD) + (2*LSPB) = 2336
_ds_store_b16_d16_hi v[vgprLocalWriteAddrB], v[vgprG2LB+10:vgprG2LB+10+0] offset:2856 // lwoB_0_5_2_0 = (5 + 0*LSCB)*(MT1J+PAD) + (2*LSPB) = 2856
_ds_store_b16 v[vgprLocalWriteAddrB], v[vgprG2LB+11:vgprG2LB+11+0] offset:3376 // lwoB_0_6_2_0 = (6 + 0*LSCB)*(MT1J+PAD) + (2*LSPB) = 3376
_ds_store_b16_d16_hi v[vgprLocalWriteAddrB], v[vgprG2LB+11:vgprG2LB+11+0] offset:3896 // lwoB_0_7_2_0 = (7 + 0*LSCB)*(MT1J+PAD) + (2*LSPB) = 3896
_ds_store_b16 v[vgprLocalWriteAddrB], v[vgprG2LB+12:vgprG2LB+12+0] offset:384 // lwoB_0_0_3_0 = (0 + 0*LSCB)*(MT1J+PAD) + (3*LSPB) = 384
_ds_store_b16_d16_hi v[vgprLocalWriteAddrB], v[vgprG2LB+12:vgprG2LB+12+0] offset:904 // lwoB_0_1_3_0 = (1 + 0*LSCB)*(MT1J+PAD) + (3*LSPB) = 904
_ds_store_b16 v[vgprLocalWriteAddrB], v[vgprG2LB+13:vgprG2LB+13+0] offset:1424 // lwoB_0_2_3_0 = (2 + 0*LSCB)*(MT1J+PAD) + (3*LSPB) = 1424
_ds_store_b16_d16_hi v[vgprLocalWriteAddrB], v[vgprG2LB+13:vgprG2LB+13+0] offset:1944 // lwoB_0_3_3_0 = (3 + 0*LSCB)*(MT1J+PAD) + (3*LSPB) = 1944
_ds_store_b16 v[vgprLocalWriteAddrB], v[vgprG2LB+14:vgprG2LB+14+0] offset:2464 // lwoB_0_4_3_0 = (4 + 0*LSCB)*(MT1J+PAD) + (3*LSPB) = 2464
_ds_store_b16_d16_hi v[vgprLocalWriteAddrB], v[vgprG2LB+14:vgprG2LB+14+0] offset:2984 // lwoB_0_5_3_0 = (5 + 0*LSCB)*(MT1J+PAD) + (3*LSPB) = 2984
_ds_store_b16 v[vgprLocalWriteAddrB], v[vgprG2LB+15:vgprG2LB+15+0] offset:3504 // lwoB_0_6_3_0 = (6 + 0*LSCB)*(MT1J+PAD) + (3*LSPB) = 3504
_ds_store_b16_d16_hi v[vgprLocalWriteAddrB], v[vgprG2LB+15:vgprG2LB+15+0] offset:4024 // lwoB_0_7_3_0 = (7 + 0*LSCB)*(MT1J+PAD) + (3*LSPB) = 4024

s_waitcnt lgkmcnt(0)                               // lgkmcnt=0 vmcnt=-12prefetch wait for local write

s_barrier //


/* prefetch local a */

_ds_load_b64 v[vgprValuA_X0_I0+0:vgprValuA_X0_I0+0+1], v[vgprLocalReadAddrA] offset:0 // L -> Reg lro=0 swapByteOffset=0 ti=16 vIdx=0 rIdx=0 oIdx=0 buffer=0 iui=0
_ds_load_b64 v[vgprValuA_X0_I0+2:vgprValuA_X0_I0+2+1], v[vgprLocalReadAddrA] offset:128 // L -> Reg lro=0 swapByteOffset=0 ti=16 vIdx=1 rIdx=0 oIdx=0 buffer=0 iui=0
	;; [unrolled: 1-line block ×4, first 2 shown]


/* prefetch local b */

_ds_load_b64 v[vgprValuB_X0_I0+0:vgprValuB_X0_I0+0+1], v[vgprLocalReadAddrB] offset:0 // L -> Reg lro=0 swapByteOffset=0 ti=16 vIdx=0 rIdx=0 oIdx=0 buffer=0 iui=0
_ds_load_b64 v[vgprValuB_X0_I0+2:vgprValuB_X0_I0+2+1], v[vgprLocalReadAddrB] offset:128 // L -> Reg lro=0 swapByteOffset=0 ti=16 vIdx=1 rIdx=0 oIdx=0 buffer=0 iui=0
	;; [unrolled: 1-line block ×4, first 2 shown]

/* local read increment a */

/* N/A, lro->256 */
/* self.localReadDoCntA 0 self.localReadDoCntB 0 */

/* local read increment b */

/* N/A, lro->260 */
/* self.localReadDoCntA 0 self.localReadDoCntB 0 */


/* iter 0 */


/* local read a */
_ds_load_b64 v[vgprValuA_X1_I0+0:vgprValuA_X1_I0+0+1], v[vgprLocalReadAddrA] offset:512 // L -> Reg lro=256 swapByteOffset=0 ti=16 vIdx=0 rIdx=0 oIdx=0 buffer=1 iui=0
_ds_load_b64 v[vgprValuA_X1_I0+2:vgprValuA_X1_I0+2+1], v[vgprLocalReadAddrA] offset:640 // L -> Reg lro=256 swapByteOffset=0 ti=16 vIdx=1 rIdx=0 oIdx=0 buffer=1 iui=0
	;; [unrolled: 1-line block ×4, first 2 shown]

/* local read b */
_ds_load_b64 v[vgprValuB_X1_I0+0:vgprValuB_X1_I0+0+1], v[vgprLocalReadAddrB] offset:520 // L -> Reg lro=260 swapByteOffset=0 ti=16 vIdx=0 rIdx=0 oIdx=0 buffer=1 iui=0
_ds_load_b64 v[vgprValuB_X1_I0+2:vgprValuB_X1_I0+2+1], v[vgprLocalReadAddrB] offset:648 // L -> Reg lro=260 swapByteOffset=0 ti=16 vIdx=1 rIdx=0 oIdx=0 buffer=1 iui=0
	;; [unrolled: 1-line block ×4, first 2 shown]

/* local read increment a */
/* N/A, lro->512 */
/* self.localReadDoCntA 0 self.localReadDoCntB 0 */

/* local read increment b */
/* N/A, lro->520 */
/* self.localReadDoCntA 0 self.localReadDoCntB 0 */
s_waitcnt lgkmcnt(8)                               // lgkmcnt=0 vmcnt=-1wait for prior local read local write old=0, new=8 newLW=0 newLR=0
.align32 8, 0xbf800001                             // align v_pk_fma
MAC_16x16_X0

/* iter 1 */


/* local read a */
_ds_load_b64 v[vgprValuA_X0_I0+0:vgprValuA_X0_I0+0+1], v[vgprLocalReadAddrA] offset:1024 // L -> Reg lro=512 swapByteOffset=0 ti=16 vIdx=0 rIdx=0 oIdx=0 buffer=0 iui=0
_ds_load_b64 v[vgprValuA_X0_I0+2:vgprValuA_X0_I0+2+1], v[vgprLocalReadAddrA] offset:1152 // L -> Reg lro=512 swapByteOffset=0 ti=16 vIdx=1 rIdx=0 oIdx=0 buffer=0 iui=0
	;; [unrolled: 1-line block ×4, first 2 shown]

/* local read b */
_ds_load_b64 v[vgprValuB_X0_I0+0:vgprValuB_X0_I0+0+1], v[vgprLocalReadAddrB] offset:1040 // L -> Reg lro=520 swapByteOffset=0 ti=16 vIdx=0 rIdx=0 oIdx=0 buffer=0 iui=0
_ds_load_b64 v[vgprValuB_X0_I0+2:vgprValuB_X0_I0+2+1], v[vgprLocalReadAddrB] offset:1168 // L -> Reg lro=520 swapByteOffset=0 ti=16 vIdx=1 rIdx=0 oIdx=0 buffer=0 iui=0
	;; [unrolled: 1-line block ×4, first 2 shown]

/* local read increment a */
/* N/A, lro->768 */
/* self.localReadDoCntA 0 self.localReadDoCntB 0 */

/* local read increment b */
/* N/A, lro->780 */
/* self.localReadDoCntA 0 self.localReadDoCntB 0 */
s_waitcnt lgkmcnt(8)                               // lgkmcnt=0 vmcnt=-1wait for prior local read local write old=0, new=8 newLW=0 newLR=0
.align32 8, 0xbf800001                             // align v_pk_fma
MAC_16x16_X1

/* iter 2 */


/* local read a */
_ds_load_b64 v[vgprValuA_X1_I0+0:vgprValuA_X1_I0+0+1], v[vgprLocalReadAddrA] offset:1536 // L -> Reg lro=768 swapByteOffset=0 ti=16 vIdx=0 rIdx=0 oIdx=0 buffer=1 iui=0
_ds_load_b64 v[vgprValuA_X1_I0+2:vgprValuA_X1_I0+2+1], v[vgprLocalReadAddrA] offset:1664 // L -> Reg lro=768 swapByteOffset=0 ti=16 vIdx=1 rIdx=0 oIdx=0 buffer=1 iui=0
_ds_load_b64 v[vgprValuA_X1_I0+4:vgprValuA_X1_I0+4+1], v[vgprLocalReadAddrA] offset:1792 // L -> Reg lro=768 swapByteOffset=0 ti=16 vIdx=2 rIdx=0 oIdx=0 buffer=1 iui=0
_ds_load_b64 v[vgprValuA_X1_I0+6:vgprValuA_X1_I0+6+1], v[vgprLocalReadAddrA] offset:1920 // L -> Reg lro=768 swapByteOffset=0 ti=16 vIdx=3 rIdx=0 oIdx=0 buffer=1 iui=0

/* local read b */
_ds_load_b64 v[vgprValuB_X1_I0+0:vgprValuB_X1_I0+0+1], v[vgprLocalReadAddrB] offset:1560 // L -> Reg lro=780 swapByteOffset=0 ti=16 vIdx=0 rIdx=0 oIdx=0 buffer=1 iui=0
_ds_load_b64 v[vgprValuB_X1_I0+2:vgprValuB_X1_I0+2+1], v[vgprLocalReadAddrB] offset:1688 // L -> Reg lro=780 swapByteOffset=0 ti=16 vIdx=1 rIdx=0 oIdx=0 buffer=1 iui=0
	;; [unrolled: 1-line block ×4, first 2 shown]

/* local read increment a */
/* N/A, lro->1024 */
/* self.localReadDoCntA 0 self.localReadDoCntB 0 */

/* local read increment b */
/* N/A, lro->1040 */
/* self.localReadDoCntA 0 self.localReadDoCntB 0 */
s_waitcnt lgkmcnt(8)                               // lgkmcnt=0 vmcnt=-1wait for prior local read local write old=0, new=8 newLW=0 newLR=0
.align32 8, 0xbf800001                             // align v_pk_fma
MAC_16x16_X0

/* iter 3 */


/* local read a */
_ds_load_b64 v[vgprValuA_X0_I0+0:vgprValuA_X0_I0+0+1], v[vgprLocalReadAddrA] offset:2048 // L -> Reg lro=1024 swapByteOffset=0 ti=16 vIdx=0 rIdx=0 oIdx=0 buffer=0 iui=0
_ds_load_b64 v[vgprValuA_X0_I0+2:vgprValuA_X0_I0+2+1], v[vgprLocalReadAddrA] offset:2176 // L -> Reg lro=1024 swapByteOffset=0 ti=16 vIdx=1 rIdx=0 oIdx=0 buffer=0 iui=0
	;; [unrolled: 1-line block ×4, first 2 shown]

/* local read b */
_ds_load_b64 v[vgprValuB_X0_I0+0:vgprValuB_X0_I0+0+1], v[vgprLocalReadAddrB] offset:2080 // L -> Reg lro=1040 swapByteOffset=0 ti=16 vIdx=0 rIdx=0 oIdx=0 buffer=0 iui=0
_ds_load_b64 v[vgprValuB_X0_I0+2:vgprValuB_X0_I0+2+1], v[vgprLocalReadAddrB] offset:2208 // L -> Reg lro=1040 swapByteOffset=0 ti=16 vIdx=1 rIdx=0 oIdx=0 buffer=0 iui=0
	;; [unrolled: 1-line block ×4, first 2 shown]

/* local read increment a */
/* N/A, lro->1280 */
/* self.localReadDoCntA 0 self.localReadDoCntB 0 */

/* local read increment b */
/* N/A, lro->1300 */
/* self.localReadDoCntA 0 self.localReadDoCntB 0 */
s_waitcnt lgkmcnt(8)                               // lgkmcnt=0 vmcnt=-1wait for prior local read local write old=0, new=8 newLW=0 newLR=0
.align32 8, 0xbf800001                             // align v_pk_fma
MAC_16x16_X1

/* iter 4 */


/* local read a */
_ds_load_b64 v[vgprValuA_X1_I0+0:vgprValuA_X1_I0+0+1], v[vgprLocalReadAddrA] offset:2560 // L -> Reg lro=1280 swapByteOffset=0 ti=16 vIdx=0 rIdx=0 oIdx=0 buffer=1 iui=0
_ds_load_b64 v[vgprValuA_X1_I0+2:vgprValuA_X1_I0+2+1], v[vgprLocalReadAddrA] offset:2688 // L -> Reg lro=1280 swapByteOffset=0 ti=16 vIdx=1 rIdx=0 oIdx=0 buffer=1 iui=0
	;; [unrolled: 1-line block ×4, first 2 shown]

/* local read b */
_ds_load_b64 v[vgprValuB_X1_I0+0:vgprValuB_X1_I0+0+1], v[vgprLocalReadAddrB] offset:2600 // L -> Reg lro=1300 swapByteOffset=0 ti=16 vIdx=0 rIdx=0 oIdx=0 buffer=1 iui=0
_ds_load_b64 v[vgprValuB_X1_I0+2:vgprValuB_X1_I0+2+1], v[vgprLocalReadAddrB] offset:2728 // L -> Reg lro=1300 swapByteOffset=0 ti=16 vIdx=1 rIdx=0 oIdx=0 buffer=1 iui=0
	;; [unrolled: 1-line block ×4, first 2 shown]

/* local read increment a */
/* N/A, lro->1536 */
/* self.localReadDoCntA 0 self.localReadDoCntB 0 */

/* local read increment b */
/* N/A, lro->1560 */
/* self.localReadDoCntA 0 self.localReadDoCntB 0 */
s_waitcnt lgkmcnt(8)                               // lgkmcnt=0 vmcnt=-1wait for prior local read local write old=0, new=8 newLW=0 newLR=0
.align32 8, 0xbf800001                             // align v_pk_fma
MAC_16x16_X0

/* iter 5 */


/* local read a */
_ds_load_b64 v[vgprValuA_X0_I0+0:vgprValuA_X0_I0+0+1], v[vgprLocalReadAddrA] offset:3072 // L -> Reg lro=1536 swapByteOffset=0 ti=16 vIdx=0 rIdx=0 oIdx=0 buffer=0 iui=0
_ds_load_b64 v[vgprValuA_X0_I0+2:vgprValuA_X0_I0+2+1], v[vgprLocalReadAddrA] offset:3200 // L -> Reg lro=1536 swapByteOffset=0 ti=16 vIdx=1 rIdx=0 oIdx=0 buffer=0 iui=0
	;; [unrolled: 1-line block ×4, first 2 shown]

/* local read b */
_ds_load_b64 v[vgprValuB_X0_I0+0:vgprValuB_X0_I0+0+1], v[vgprLocalReadAddrB] offset:3120 // L -> Reg lro=1560 swapByteOffset=0 ti=16 vIdx=0 rIdx=0 oIdx=0 buffer=0 iui=0
_ds_load_b64 v[vgprValuB_X0_I0+2:vgprValuB_X0_I0+2+1], v[vgprLocalReadAddrB] offset:3248 // L -> Reg lro=1560 swapByteOffset=0 ti=16 vIdx=1 rIdx=0 oIdx=0 buffer=0 iui=0
	;; [unrolled: 1-line block ×4, first 2 shown]

/* local read increment a */
/* N/A, lro->1792 */
/* self.localReadDoCntA 0 self.localReadDoCntB 0 */

/* local read increment b */
/* N/A, lro->1820 */
/* self.localReadDoCntA 0 self.localReadDoCntB 0 */
s_waitcnt lgkmcnt(8)                               // lgkmcnt=0 vmcnt=-1wait for prior local read local write old=0, new=8 newLW=0 newLR=0
.align32 8, 0xbf800001                             // align v_pk_fma
MAC_16x16_X1

/* iter 6 */


/* local read a */
_ds_load_b64 v[vgprValuA_X1_I0+0:vgprValuA_X1_I0+0+1], v[vgprLocalReadAddrA] offset:3584 // L -> Reg lro=1792 swapByteOffset=0 ti=16 vIdx=0 rIdx=0 oIdx=0 buffer=1 iui=0
_ds_load_b64 v[vgprValuA_X1_I0+2:vgprValuA_X1_I0+2+1], v[vgprLocalReadAddrA] offset:3712 // L -> Reg lro=1792 swapByteOffset=0 ti=16 vIdx=1 rIdx=0 oIdx=0 buffer=1 iui=0
	;; [unrolled: 1-line block ×4, first 2 shown]

/* local read b */
_ds_load_b64 v[vgprValuB_X1_I0+0:vgprValuB_X1_I0+0+1], v[vgprLocalReadAddrB] offset:3640 // L -> Reg lro=1820 swapByteOffset=0 ti=16 vIdx=0 rIdx=0 oIdx=0 buffer=1 iui=0
_ds_load_b64 v[vgprValuB_X1_I0+2:vgprValuB_X1_I0+2+1], v[vgprLocalReadAddrB] offset:3768 // L -> Reg lro=1820 swapByteOffset=0 ti=16 vIdx=1 rIdx=0 oIdx=0 buffer=1 iui=0
	;; [unrolled: 1-line block ×4, first 2 shown]

/* local read increment a */
/* N/A, lro->2048 */
/* self.localReadDoCntA 0 self.localReadDoCntB 0 */

/* local read increment b */
/* N/A, lro->2080 */
/* self.localReadDoCntA 0 self.localReadDoCntB 0 */
s_waitcnt lgkmcnt(8)                               // lgkmcnt=0 vmcnt=-1wait for prior local read local write old=0, new=8 newLW=0 newLR=0
.align32 8, 0xbf800001                             // align v_pk_fma
MAC_16x16_X0

/* iter 7 */


/* local read a */
_ds_load_b64 v[vgprValuA_X0_I0+0:vgprValuA_X0_I0+0+1], v[vgprLocalReadAddrA] offset:4096 // L -> Reg lro=2048 swapByteOffset=0 ti=16 vIdx=0 rIdx=0 oIdx=0 buffer=0 iui=0
_ds_load_b64 v[vgprValuA_X0_I0+2:vgprValuA_X0_I0+2+1], v[vgprLocalReadAddrA] offset:4224 // L -> Reg lro=2048 swapByteOffset=0 ti=16 vIdx=1 rIdx=0 oIdx=0 buffer=0 iui=0
	;; [unrolled: 1-line block ×4, first 2 shown]

/* local read b */
_ds_load_b64 v[vgprValuB_X0_I0+0:vgprValuB_X0_I0+0+1], v[vgprLocalReadAddrB] offset:4160 // L -> Reg lro=2080 swapByteOffset=0 ti=16 vIdx=0 rIdx=0 oIdx=0 buffer=0 iui=0
_ds_load_b64 v[vgprValuB_X0_I0+2:vgprValuB_X0_I0+2+1], v[vgprLocalReadAddrB] offset:4288 // L -> Reg lro=2080 swapByteOffset=0 ti=16 vIdx=1 rIdx=0 oIdx=0 buffer=0 iui=0
	;; [unrolled: 1-line block ×4, first 2 shown]

/* local read increment a */
/* N/A, lro->2304 */
/* self.localReadDoCntA 0 self.localReadDoCntB 0 */

/* local read increment b */
/* N/A, lro->2340 */
/* self.localReadDoCntA 0 self.localReadDoCntB 0 */
s_waitcnt lgkmcnt(8)                               // lgkmcnt=0 vmcnt=-1wait for prior local read local write old=0, new=8 newLW=0 newLR=0
.align32 8, 0xbf800001                             // align v_pk_fma
MAC_16x16_X1

/* iter 8 */


/* local read a */
_ds_load_b64 v[vgprValuA_X1_I0+0:vgprValuA_X1_I0+0+1], v[vgprLocalReadAddrA] offset:4608 // L -> Reg lro=2304 swapByteOffset=0 ti=16 vIdx=0 rIdx=0 oIdx=0 buffer=1 iui=0
_ds_load_b64 v[vgprValuA_X1_I0+2:vgprValuA_X1_I0+2+1], v[vgprLocalReadAddrA] offset:4736 // L -> Reg lro=2304 swapByteOffset=0 ti=16 vIdx=1 rIdx=0 oIdx=0 buffer=1 iui=0
	;; [unrolled: 1-line block ×4, first 2 shown]

/* local read b */
_ds_load_b64 v[vgprValuB_X1_I0+0:vgprValuB_X1_I0+0+1], v[vgprLocalReadAddrB] offset:4680 // L -> Reg lro=2340 swapByteOffset=0 ti=16 vIdx=0 rIdx=0 oIdx=0 buffer=1 iui=0
_ds_load_b64 v[vgprValuB_X1_I0+2:vgprValuB_X1_I0+2+1], v[vgprLocalReadAddrB] offset:4808 // L -> Reg lro=2340 swapByteOffset=0 ti=16 vIdx=1 rIdx=0 oIdx=0 buffer=1 iui=0
	;; [unrolled: 1-line block ×4, first 2 shown]

/* local read increment a */
/* N/A, lro->2560 */
/* self.localReadDoCntA 0 self.localReadDoCntB 0 */

/* local read increment b */
/* N/A, lro->2600 */
/* self.localReadDoCntA 0 self.localReadDoCntB 0 */
s_waitcnt lgkmcnt(8)                               // lgkmcnt=0 vmcnt=-1wait for prior local read local write old=0, new=8 newLW=0 newLR=0
.align32 8, 0xbf800001                             // align v_pk_fma
MAC_16x16_X0

/* iter 9 */


/* local read a */
_ds_load_b64 v[vgprValuA_X0_I0+0:vgprValuA_X0_I0+0+1], v[vgprLocalReadAddrA] offset:5120 // L -> Reg lro=2560 swapByteOffset=0 ti=16 vIdx=0 rIdx=0 oIdx=0 buffer=0 iui=0
_ds_load_b64 v[vgprValuA_X0_I0+2:vgprValuA_X0_I0+2+1], v[vgprLocalReadAddrA] offset:5248 // L -> Reg lro=2560 swapByteOffset=0 ti=16 vIdx=1 rIdx=0 oIdx=0 buffer=0 iui=0
	;; [unrolled: 1-line block ×4, first 2 shown]

/* local read b */
_ds_load_b64 v[vgprValuB_X0_I0+0:vgprValuB_X0_I0+0+1], v[vgprLocalReadAddrB] offset:5200 // L -> Reg lro=2600 swapByteOffset=0 ti=16 vIdx=0 rIdx=0 oIdx=0 buffer=0 iui=0
_ds_load_b64 v[vgprValuB_X0_I0+2:vgprValuB_X0_I0+2+1], v[vgprLocalReadAddrB] offset:5328 // L -> Reg lro=2600 swapByteOffset=0 ti=16 vIdx=1 rIdx=0 oIdx=0 buffer=0 iui=0
	;; [unrolled: 1-line block ×4, first 2 shown]

/* local read increment a */
/* N/A, lro->2816 */
/* self.localReadDoCntA 0 self.localReadDoCntB 0 */

/* local read increment b */
/* N/A, lro->2860 */
/* self.localReadDoCntA 0 self.localReadDoCntB 0 */
s_waitcnt lgkmcnt(8)                               // lgkmcnt=0 vmcnt=-1wait for prior local read local write old=0, new=8 newLW=0 newLR=0
.align32 8, 0xbf800001                             // align v_pk_fma
MAC_16x16_X1

/* iter 10 */


/* local read a */
_ds_load_b64 v[vgprValuA_X1_I0+0:vgprValuA_X1_I0+0+1], v[vgprLocalReadAddrA] offset:5632 // L -> Reg lro=2816 swapByteOffset=0 ti=16 vIdx=0 rIdx=0 oIdx=0 buffer=1 iui=0
_ds_load_b64 v[vgprValuA_X1_I0+2:vgprValuA_X1_I0+2+1], v[vgprLocalReadAddrA] offset:5760 // L -> Reg lro=2816 swapByteOffset=0 ti=16 vIdx=1 rIdx=0 oIdx=0 buffer=1 iui=0
_ds_load_b64 v[vgprValuA_X1_I0+4:vgprValuA_X1_I0+4+1], v[vgprLocalReadAddrA] offset:5888 // L -> Reg lro=2816 swapByteOffset=0 ti=16 vIdx=2 rIdx=0 oIdx=0 buffer=1 iui=0
_ds_load_b64 v[vgprValuA_X1_I0+6:vgprValuA_X1_I0+6+1], v[vgprLocalReadAddrA] offset:6016 // L -> Reg lro=2816 swapByteOffset=0 ti=16 vIdx=3 rIdx=0 oIdx=0 buffer=1 iui=0

/* local read b */
_ds_load_b64 v[vgprValuB_X1_I0+0:vgprValuB_X1_I0+0+1], v[vgprLocalReadAddrB] offset:5720 // L -> Reg lro=2860 swapByteOffset=0 ti=16 vIdx=0 rIdx=0 oIdx=0 buffer=1 iui=0
_ds_load_b64 v[vgprValuB_X1_I0+2:vgprValuB_X1_I0+2+1], v[vgprLocalReadAddrB] offset:5848 // L -> Reg lro=2860 swapByteOffset=0 ti=16 vIdx=1 rIdx=0 oIdx=0 buffer=1 iui=0
	;; [unrolled: 1-line block ×4, first 2 shown]

/* local read increment a */
/* N/A, lro->3072 */
/* self.localReadDoCntA 0 self.localReadDoCntB 0 */

/* local read increment b */
/* N/A, lro->3120 */
/* self.localReadDoCntA 0 self.localReadDoCntB 0 */
s_waitcnt lgkmcnt(8)                               // lgkmcnt=0 vmcnt=-1wait for prior local read local write old=0, new=8 newLW=0 newLR=0
.align32 8, 0xbf800001                             // align v_pk_fma
MAC_16x16_X0

/* iter 11 */


/* local read a */
_ds_load_b64 v[vgprValuA_X0_I0+0:vgprValuA_X0_I0+0+1], v[vgprLocalReadAddrA] offset:6144 // L -> Reg lro=3072 swapByteOffset=0 ti=16 vIdx=0 rIdx=0 oIdx=0 buffer=0 iui=0
_ds_load_b64 v[vgprValuA_X0_I0+2:vgprValuA_X0_I0+2+1], v[vgprLocalReadAddrA] offset:6272 // L -> Reg lro=3072 swapByteOffset=0 ti=16 vIdx=1 rIdx=0 oIdx=0 buffer=0 iui=0
	;; [unrolled: 1-line block ×4, first 2 shown]

/* local read b */
_ds_load_b64 v[vgprValuB_X0_I0+0:vgprValuB_X0_I0+0+1], v[vgprLocalReadAddrB] offset:6240 // L -> Reg lro=3120 swapByteOffset=0 ti=16 vIdx=0 rIdx=0 oIdx=0 buffer=0 iui=0
_ds_load_b64 v[vgprValuB_X0_I0+2:vgprValuB_X0_I0+2+1], v[vgprLocalReadAddrB] offset:6368 // L -> Reg lro=3120 swapByteOffset=0 ti=16 vIdx=1 rIdx=0 oIdx=0 buffer=0 iui=0
	;; [unrolled: 1-line block ×4, first 2 shown]

/* local read increment a */
/* N/A, lro->3328 */
/* self.localReadDoCntA 0 self.localReadDoCntB 0 */

/* local read increment b */
/* N/A, lro->3380 */
/* self.localReadDoCntA 0 self.localReadDoCntB 0 */
s_waitcnt lgkmcnt(8)                               // lgkmcnt=0 vmcnt=-1wait for prior local read local write old=0, new=8 newLW=0 newLR=0
.align32 8, 0xbf800001                             // align v_pk_fma
MAC_16x16_X1

/* iter 12 */


/* local read a */
_ds_load_b64 v[vgprValuA_X1_I0+0:vgprValuA_X1_I0+0+1], v[vgprLocalReadAddrA] offset:6656 // L -> Reg lro=3328 swapByteOffset=0 ti=16 vIdx=0 rIdx=0 oIdx=0 buffer=1 iui=0
_ds_load_b64 v[vgprValuA_X1_I0+2:vgprValuA_X1_I0+2+1], v[vgprLocalReadAddrA] offset:6784 // L -> Reg lro=3328 swapByteOffset=0 ti=16 vIdx=1 rIdx=0 oIdx=0 buffer=1 iui=0
	;; [unrolled: 1-line block ×4, first 2 shown]

/* local read b */
_ds_load_b64 v[vgprValuB_X1_I0+0:vgprValuB_X1_I0+0+1], v[vgprLocalReadAddrB] offset:6760 // L -> Reg lro=3380 swapByteOffset=0 ti=16 vIdx=0 rIdx=0 oIdx=0 buffer=1 iui=0
_ds_load_b64 v[vgprValuB_X1_I0+2:vgprValuB_X1_I0+2+1], v[vgprLocalReadAddrB] offset:6888 // L -> Reg lro=3380 swapByteOffset=0 ti=16 vIdx=1 rIdx=0 oIdx=0 buffer=1 iui=0
	;; [unrolled: 1-line block ×4, first 2 shown]

/* local read increment a */
/* N/A, lro->3584 */
/* self.localReadDoCntA 0 self.localReadDoCntB 0 */

/* local read increment b */
/* N/A, lro->3640 */
/* self.localReadDoCntA 0 self.localReadDoCntB 0 */
s_waitcnt lgkmcnt(8)                               // lgkmcnt=0 vmcnt=-1wait for prior local read local write old=0, new=8 newLW=0 newLR=0
.align32 8, 0xbf800001                             // align v_pk_fma
MAC_16x16_X0

/* iter 13 */


/* local read a */
_ds_load_b64 v[vgprValuA_X0_I0+0:vgprValuA_X0_I0+0+1], v[vgprLocalReadAddrA] offset:7168 // L -> Reg lro=3584 swapByteOffset=0 ti=16 vIdx=0 rIdx=0 oIdx=0 buffer=0 iui=0
_ds_load_b64 v[vgprValuA_X0_I0+2:vgprValuA_X0_I0+2+1], v[vgprLocalReadAddrA] offset:7296 // L -> Reg lro=3584 swapByteOffset=0 ti=16 vIdx=1 rIdx=0 oIdx=0 buffer=0 iui=0
	;; [unrolled: 1-line block ×4, first 2 shown]

/* local read b */
_ds_load_b64 v[vgprValuB_X0_I0+0:vgprValuB_X0_I0+0+1], v[vgprLocalReadAddrB] offset:7280 // L -> Reg lro=3640 swapByteOffset=0 ti=16 vIdx=0 rIdx=0 oIdx=0 buffer=0 iui=0
_ds_load_b64 v[vgprValuB_X0_I0+2:vgprValuB_X0_I0+2+1], v[vgprLocalReadAddrB] offset:7408 // L -> Reg lro=3640 swapByteOffset=0 ti=16 vIdx=1 rIdx=0 oIdx=0 buffer=0 iui=0
	;; [unrolled: 1-line block ×4, first 2 shown]

/* local read increment a */
/* N/A, lro->3840 */
/* self.localReadDoCntA 0 self.localReadDoCntB 0 */

/* local read increment b */
/* N/A, lro->3900 */
/* self.localReadDoCntA 0 self.localReadDoCntB 0 */
s_waitcnt lgkmcnt(8)                               // lgkmcnt=0 vmcnt=-1wait for prior local read local write old=0, new=8 newLW=0 newLR=0
.align32 8, 0xbf800001                             // align v_pk_fma
MAC_16x16_X1

/* iter 14 */


/* local read a */
_ds_load_b64 v[vgprValuA_X1_I0+0:vgprValuA_X1_I0+0+1], v[vgprLocalReadAddrA] offset:7680 // L -> Reg lro=3840 swapByteOffset=0 ti=16 vIdx=0 rIdx=0 oIdx=0 buffer=1 iui=0
_ds_load_b64 v[vgprValuA_X1_I0+2:vgprValuA_X1_I0+2+1], v[vgprLocalReadAddrA] offset:7808 // L -> Reg lro=3840 swapByteOffset=0 ti=16 vIdx=1 rIdx=0 oIdx=0 buffer=1 iui=0
	;; [unrolled: 1-line block ×4, first 2 shown]

/* local read b */
_ds_load_b64 v[vgprValuB_X1_I0+0:vgprValuB_X1_I0+0+1], v[vgprLocalReadAddrB] offset:7800 // L -> Reg lro=3900 swapByteOffset=0 ti=16 vIdx=0 rIdx=0 oIdx=0 buffer=1 iui=0
_ds_load_b64 v[vgprValuB_X1_I0+2:vgprValuB_X1_I0+2+1], v[vgprLocalReadAddrB] offset:7928 // L -> Reg lro=3900 swapByteOffset=0 ti=16 vIdx=1 rIdx=0 oIdx=0 buffer=1 iui=0
_ds_load_b64 v[vgprValuB_X1_I0+4:vgprValuB_X1_I0+4+1], v[vgprLocalReadAddrB] offset:8056 // L -> Reg lro=3900 swapByteOffset=0 ti=16 vIdx=2 rIdx=0 oIdx=0 buffer=1 iui=0
_ds_load_b64 v[vgprValuB_X1_I0+6:vgprValuB_X1_I0+6+1], v[vgprLocalReadAddrB] offset:8184 // L -> Reg lro=3900 swapByteOffset=0 ti=16 vIdx=3 rIdx=0 oIdx=0 buffer=1 iui=0

/* local read increment a */
/* N/A, lro->4096 */
/* self.localReadDoCntA 0 self.localReadDoCntB 0 */

/* local read increment b */
/* N/A, lro->4160 */
/* self.localReadDoCntA 0 self.localReadDoCntB 0 */
s_waitcnt lgkmcnt(8)                               // lgkmcnt=0 vmcnt=-1wait for prior local read local write old=0, new=8 newLW=0 newLR=0
.align32 8, 0xbf800001                             // align v_pk_fma
MAC_16x16_X0

/* iter 15 */


/* local read a */
_ds_load_b64 v[vgprValuA_X0_I0+0:vgprValuA_X0_I0+0+1], v[vgprLocalReadAddrA] offset:8192 // L -> Reg lro=4096 swapByteOffset=0 ti=16 vIdx=0 rIdx=0 oIdx=0 buffer=0 iui=0
_ds_load_b64 v[vgprValuA_X0_I0+2:vgprValuA_X0_I0+2+1], v[vgprLocalReadAddrA] offset:8320 // L -> Reg lro=4096 swapByteOffset=0 ti=16 vIdx=1 rIdx=0 oIdx=0 buffer=0 iui=0
	;; [unrolled: 1-line block ×4, first 2 shown]

/* local read b */
_ds_load_b64 v[vgprValuB_X0_I0+0:vgprValuB_X0_I0+0+1], v[vgprLocalReadAddrB] offset:8320 // L -> Reg lro=4160 swapByteOffset=0 ti=16 vIdx=0 rIdx=0 oIdx=0 buffer=0 iui=0
_ds_load_b64 v[vgprValuB_X0_I0+2:vgprValuB_X0_I0+2+1], v[vgprLocalReadAddrB] offset:8448 // L -> Reg lro=4160 swapByteOffset=0 ti=16 vIdx=1 rIdx=0 oIdx=0 buffer=0 iui=0
	;; [unrolled: 1-line block ×4, first 2 shown]

/* local read increment a */
/* N/A, lro->4352 */
/* self.localReadDoCntA 0 self.localReadDoCntB 0 */

/* local read increment b */
/* N/A, lro->4420 */
/* self.localReadDoCntA 0 self.localReadDoCntB 0 */
s_waitcnt lgkmcnt(8)                               // lgkmcnt=0 vmcnt=-1wait for prior local read local write old=0, new=8 newLW=0 newLR=0
.align32 8, 0xbf800001                             // align v_pk_fma
MAC_16x16_X1

/* iter 16 */


/* local read a */
_ds_load_b64 v[vgprValuA_X1_I0+0:vgprValuA_X1_I0+0+1], v[vgprLocalReadAddrA] offset:8704 // L -> Reg lro=4352 swapByteOffset=0 ti=16 vIdx=0 rIdx=0 oIdx=0 buffer=1 iui=0
_ds_load_b64 v[vgprValuA_X1_I0+2:vgprValuA_X1_I0+2+1], v[vgprLocalReadAddrA] offset:8832 // L -> Reg lro=4352 swapByteOffset=0 ti=16 vIdx=1 rIdx=0 oIdx=0 buffer=1 iui=0
	;; [unrolled: 1-line block ×4, first 2 shown]

/* local read b */
_ds_load_b64 v[vgprValuB_X1_I0+0:vgprValuB_X1_I0+0+1], v[vgprLocalReadAddrB] offset:8840 // L -> Reg lro=4420 swapByteOffset=0 ti=16 vIdx=0 rIdx=0 oIdx=0 buffer=1 iui=0
_ds_load_b64 v[vgprValuB_X1_I0+2:vgprValuB_X1_I0+2+1], v[vgprLocalReadAddrB] offset:8968 // L -> Reg lro=4420 swapByteOffset=0 ti=16 vIdx=1 rIdx=0 oIdx=0 buffer=1 iui=0
	;; [unrolled: 1-line block ×4, first 2 shown]

/* local read increment a */
/* N/A, lro->4608 */
/* self.localReadDoCntA 0 self.localReadDoCntB 0 */

/* local read increment b */
/* N/A, lro->4680 */
/* self.localReadDoCntA 0 self.localReadDoCntB 0 */
s_waitcnt lgkmcnt(8)                               // lgkmcnt=0 vmcnt=-1wait for prior local read local write old=0, new=8 newLW=0 newLR=0
.align32 8, 0xbf800001                             // align v_pk_fma
MAC_16x16_X0

/* iter 17 */


/* local read a */
_ds_load_b64 v[vgprValuA_X0_I0+0:vgprValuA_X0_I0+0+1], v[vgprLocalReadAddrA] offset:9216 // L -> Reg lro=4608 swapByteOffset=0 ti=16 vIdx=0 rIdx=0 oIdx=0 buffer=0 iui=0
_ds_load_b64 v[vgprValuA_X0_I0+2:vgprValuA_X0_I0+2+1], v[vgprLocalReadAddrA] offset:9344 // L -> Reg lro=4608 swapByteOffset=0 ti=16 vIdx=1 rIdx=0 oIdx=0 buffer=0 iui=0
_ds_load_b64 v[vgprValuA_X0_I0+4:vgprValuA_X0_I0+4+1], v[vgprLocalReadAddrA] offset:9472 // L -> Reg lro=4608 swapByteOffset=0 ti=16 vIdx=2 rIdx=0 oIdx=0 buffer=0 iui=0
_ds_load_b64 v[vgprValuA_X0_I0+6:vgprValuA_X0_I0+6+1], v[vgprLocalReadAddrA] offset:9600 // L -> Reg lro=4608 swapByteOffset=0 ti=16 vIdx=3 rIdx=0 oIdx=0 buffer=0 iui=0

/* local read b */
_ds_load_b64 v[vgprValuB_X0_I0+0:vgprValuB_X0_I0+0+1], v[vgprLocalReadAddrB] offset:9360 // L -> Reg lro=4680 swapByteOffset=0 ti=16 vIdx=0 rIdx=0 oIdx=0 buffer=0 iui=0
_ds_load_b64 v[vgprValuB_X0_I0+2:vgprValuB_X0_I0+2+1], v[vgprLocalReadAddrB] offset:9488 // L -> Reg lro=4680 swapByteOffset=0 ti=16 vIdx=1 rIdx=0 oIdx=0 buffer=0 iui=0
	;; [unrolled: 1-line block ×4, first 2 shown]

/* local read increment a */
/* N/A, lro->4864 */
/* self.localReadDoCntA 0 self.localReadDoCntB 0 */

/* local read increment b */
/* N/A, lro->4940 */
/* self.localReadDoCntA 0 self.localReadDoCntB 0 */
s_waitcnt lgkmcnt(8)                               // lgkmcnt=0 vmcnt=-1wait for prior local read local write old=0, new=8 newLW=0 newLR=0
.align32 8, 0xbf800001                             // align v_pk_fma
MAC_16x16_X1

/* iter 18 */


/* local read a */
_ds_load_b64 v[vgprValuA_X1_I0+0:vgprValuA_X1_I0+0+1], v[vgprLocalReadAddrA] offset:9728 // L -> Reg lro=4864 swapByteOffset=0 ti=16 vIdx=0 rIdx=0 oIdx=0 buffer=1 iui=0
_ds_load_b64 v[vgprValuA_X1_I0+2:vgprValuA_X1_I0+2+1], v[vgprLocalReadAddrA] offset:9856 // L -> Reg lro=4864 swapByteOffset=0 ti=16 vIdx=1 rIdx=0 oIdx=0 buffer=1 iui=0
	;; [unrolled: 1-line block ×4, first 2 shown]

/* local read b */
_ds_load_b64 v[vgprValuB_X1_I0+0:vgprValuB_X1_I0+0+1], v[vgprLocalReadAddrB] offset:9880 // L -> Reg lro=4940 swapByteOffset=0 ti=16 vIdx=0 rIdx=0 oIdx=0 buffer=1 iui=0
_ds_load_b64 v[vgprValuB_X1_I0+2:vgprValuB_X1_I0+2+1], v[vgprLocalReadAddrB] offset:10008 // L -> Reg lro=4940 swapByteOffset=0 ti=16 vIdx=1 rIdx=0 oIdx=0 buffer=1 iui=0
	;; [unrolled: 1-line block ×4, first 2 shown]

/* local read increment a */
/* N/A, lro->5120 */
/* self.localReadDoCntA 0 self.localReadDoCntB 0 */

/* local read increment b */
/* N/A, lro->5200 */
/* self.localReadDoCntA 0 self.localReadDoCntB 0 */
s_waitcnt lgkmcnt(8)                               // lgkmcnt=0 vmcnt=-1wait for prior local read local write old=0, new=8 newLW=0 newLR=0
.align32 8, 0xbf800001                             // align v_pk_fma
MAC_16x16_X0

/* iter 19 */


/* local read a */
_ds_load_b64 v[vgprValuA_X0_I0+0:vgprValuA_X0_I0+0+1], v[vgprLocalReadAddrA] offset:10240 // L -> Reg lro=5120 swapByteOffset=0 ti=16 vIdx=0 rIdx=0 oIdx=0 buffer=0 iui=0
_ds_load_b64 v[vgprValuA_X0_I0+2:vgprValuA_X0_I0+2+1], v[vgprLocalReadAddrA] offset:10368 // L -> Reg lro=5120 swapByteOffset=0 ti=16 vIdx=1 rIdx=0 oIdx=0 buffer=0 iui=0
	;; [unrolled: 1-line block ×4, first 2 shown]

/* local read b */
_ds_load_b64 v[vgprValuB_X0_I0+0:vgprValuB_X0_I0+0+1], v[vgprLocalReadAddrB] offset:10400 // L -> Reg lro=5200 swapByteOffset=0 ti=16 vIdx=0 rIdx=0 oIdx=0 buffer=0 iui=0
_ds_load_b64 v[vgprValuB_X0_I0+2:vgprValuB_X0_I0+2+1], v[vgprLocalReadAddrB] offset:10528 // L -> Reg lro=5200 swapByteOffset=0 ti=16 vIdx=1 rIdx=0 oIdx=0 buffer=0 iui=0
	;; [unrolled: 1-line block ×4, first 2 shown]

/* local read increment a */
/* N/A, lro->5376 */
/* self.localReadDoCntA 0 self.localReadDoCntB 0 */

/* local read increment b */
/* N/A, lro->5460 */
/* self.localReadDoCntA 0 self.localReadDoCntB 0 */
s_waitcnt lgkmcnt(8)                               // lgkmcnt=0 vmcnt=-1wait for prior local read local write old=0, new=8 newLW=0 newLR=0
.align32 8, 0xbf800001                             // align v_pk_fma
MAC_16x16_X1

/* iter 20 */


/* local read a */
_ds_load_b64 v[vgprValuA_X1_I0+0:vgprValuA_X1_I0+0+1], v[vgprLocalReadAddrA] offset:10752 // L -> Reg lro=5376 swapByteOffset=0 ti=16 vIdx=0 rIdx=0 oIdx=0 buffer=1 iui=0
_ds_load_b64 v[vgprValuA_X1_I0+2:vgprValuA_X1_I0+2+1], v[vgprLocalReadAddrA] offset:10880 // L -> Reg lro=5376 swapByteOffset=0 ti=16 vIdx=1 rIdx=0 oIdx=0 buffer=1 iui=0
	;; [unrolled: 1-line block ×4, first 2 shown]

/* local read b */
_ds_load_b64 v[vgprValuB_X1_I0+0:vgprValuB_X1_I0+0+1], v[vgprLocalReadAddrB] offset:10920 // L -> Reg lro=5460 swapByteOffset=0 ti=16 vIdx=0 rIdx=0 oIdx=0 buffer=1 iui=0
_ds_load_b64 v[vgprValuB_X1_I0+2:vgprValuB_X1_I0+2+1], v[vgprLocalReadAddrB] offset:11048 // L -> Reg lro=5460 swapByteOffset=0 ti=16 vIdx=1 rIdx=0 oIdx=0 buffer=1 iui=0
	;; [unrolled: 1-line block ×4, first 2 shown]

/* local read increment a */
/* N/A, lro->5632 */
/* self.localReadDoCntA 0 self.localReadDoCntB 0 */

/* local read increment b */
/* N/A, lro->5720 */
/* self.localReadDoCntA 0 self.localReadDoCntB 0 */
s_waitcnt lgkmcnt(8)                               // lgkmcnt=0 vmcnt=-1wait for prior local read local write old=0, new=8 newLW=0 newLR=0
.align32 8, 0xbf800001                             // align v_pk_fma
MAC_16x16_X0

/* iter 21 */


/* local read a */
_ds_load_b64 v[vgprValuA_X0_I0+0:vgprValuA_X0_I0+0+1], v[vgprLocalReadAddrA] offset:11264 // L -> Reg lro=5632 swapByteOffset=0 ti=16 vIdx=0 rIdx=0 oIdx=0 buffer=0 iui=0
_ds_load_b64 v[vgprValuA_X0_I0+2:vgprValuA_X0_I0+2+1], v[vgprLocalReadAddrA] offset:11392 // L -> Reg lro=5632 swapByteOffset=0 ti=16 vIdx=1 rIdx=0 oIdx=0 buffer=0 iui=0
	;; [unrolled: 1-line block ×4, first 2 shown]

/* local read b */
_ds_load_b64 v[vgprValuB_X0_I0+0:vgprValuB_X0_I0+0+1], v[vgprLocalReadAddrB] offset:11440 // L -> Reg lro=5720 swapByteOffset=0 ti=16 vIdx=0 rIdx=0 oIdx=0 buffer=0 iui=0
_ds_load_b64 v[vgprValuB_X0_I0+2:vgprValuB_X0_I0+2+1], v[vgprLocalReadAddrB] offset:11568 // L -> Reg lro=5720 swapByteOffset=0 ti=16 vIdx=1 rIdx=0 oIdx=0 buffer=0 iui=0
	;; [unrolled: 1-line block ×4, first 2 shown]

/* local read increment a */
/* N/A, lro->5888 */
/* self.localReadDoCntA 0 self.localReadDoCntB 0 */

/* local read increment b */
/* N/A, lro->5980 */
/* self.localReadDoCntA 0 self.localReadDoCntB 0 */
s_waitcnt lgkmcnt(8)                               // lgkmcnt=0 vmcnt=-1wait for prior local read local write old=0, new=8 newLW=0 newLR=0
.align32 8, 0xbf800001                             // align v_pk_fma
MAC_16x16_X1

/* iter 22 */


/* local read a */
_ds_load_b64 v[vgprValuA_X1_I0+0:vgprValuA_X1_I0+0+1], v[vgprLocalReadAddrA] offset:11776 // L -> Reg lro=5888 swapByteOffset=0 ti=16 vIdx=0 rIdx=0 oIdx=0 buffer=1 iui=0
_ds_load_b64 v[vgprValuA_X1_I0+2:vgprValuA_X1_I0+2+1], v[vgprLocalReadAddrA] offset:11904 // L -> Reg lro=5888 swapByteOffset=0 ti=16 vIdx=1 rIdx=0 oIdx=0 buffer=1 iui=0
	;; [unrolled: 1-line block ×4, first 2 shown]

/* local read b */
_ds_load_b64 v[vgprValuB_X1_I0+0:vgprValuB_X1_I0+0+1], v[vgprLocalReadAddrB] offset:11960 // L -> Reg lro=5980 swapByteOffset=0 ti=16 vIdx=0 rIdx=0 oIdx=0 buffer=1 iui=0
_ds_load_b64 v[vgprValuB_X1_I0+2:vgprValuB_X1_I0+2+1], v[vgprLocalReadAddrB] offset:12088 // L -> Reg lro=5980 swapByteOffset=0 ti=16 vIdx=1 rIdx=0 oIdx=0 buffer=1 iui=0
	;; [unrolled: 1-line block ×4, first 2 shown]

/* local read increment a */
/* N/A, lro->6144 */
/* self.localReadDoCntA 0 self.localReadDoCntB 0 */

/* local read increment b */
/* N/A, lro->6240 */
/* self.localReadDoCntA 0 self.localReadDoCntB 0 */
s_waitcnt lgkmcnt(8)                               // lgkmcnt=0 vmcnt=-1wait for prior local read local write old=0, new=8 newLW=0 newLR=0
.align32 8, 0xbf800001                             // align v_pk_fma
MAC_16x16_X0

/* iter 23 */


/* local read a */
_ds_load_b64 v[vgprValuA_X0_I0+0:vgprValuA_X0_I0+0+1], v[vgprLocalReadAddrA] offset:12288 // L -> Reg lro=6144 swapByteOffset=0 ti=16 vIdx=0 rIdx=0 oIdx=0 buffer=0 iui=0
_ds_load_b64 v[vgprValuA_X0_I0+2:vgprValuA_X0_I0+2+1], v[vgprLocalReadAddrA] offset:12416 // L -> Reg lro=6144 swapByteOffset=0 ti=16 vIdx=1 rIdx=0 oIdx=0 buffer=0 iui=0
	;; [unrolled: 1-line block ×4, first 2 shown]

/* local read b */
_ds_load_b64 v[vgprValuB_X0_I0+0:vgprValuB_X0_I0+0+1], v[vgprLocalReadAddrB] offset:12480 // L -> Reg lro=6240 swapByteOffset=0 ti=16 vIdx=0 rIdx=0 oIdx=0 buffer=0 iui=0
_ds_load_b64 v[vgprValuB_X0_I0+2:vgprValuB_X0_I0+2+1], v[vgprLocalReadAddrB] offset:12608 // L -> Reg lro=6240 swapByteOffset=0 ti=16 vIdx=1 rIdx=0 oIdx=0 buffer=0 iui=0
	;; [unrolled: 1-line block ×4, first 2 shown]

/* local read increment a */
/* N/A, lro->6400 */
/* self.localReadDoCntA 0 self.localReadDoCntB 0 */

/* local read increment b */
/* N/A, lro->6500 */
/* self.localReadDoCntA 0 self.localReadDoCntB 0 */
s_waitcnt lgkmcnt(8)                               // lgkmcnt=0 vmcnt=-1wait for prior local read local write old=0, new=8 newLW=0 newLR=0
.align32 8, 0xbf800001                             // align v_pk_fma
MAC_16x16_X1

/* iter 24 */


/* local read a */
_ds_load_b64 v[vgprValuA_X1_I0+0:vgprValuA_X1_I0+0+1], v[vgprLocalReadAddrA] offset:12800 // L -> Reg lro=6400 swapByteOffset=0 ti=16 vIdx=0 rIdx=0 oIdx=0 buffer=1 iui=0
_ds_load_b64 v[vgprValuA_X1_I0+2:vgprValuA_X1_I0+2+1], v[vgprLocalReadAddrA] offset:12928 // L -> Reg lro=6400 swapByteOffset=0 ti=16 vIdx=1 rIdx=0 oIdx=0 buffer=1 iui=0
	;; [unrolled: 1-line block ×4, first 2 shown]

/* local read b */
_ds_load_b64 v[vgprValuB_X1_I0+0:vgprValuB_X1_I0+0+1], v[vgprLocalReadAddrB] offset:13000 // L -> Reg lro=6500 swapByteOffset=0 ti=16 vIdx=0 rIdx=0 oIdx=0 buffer=1 iui=0
_ds_load_b64 v[vgprValuB_X1_I0+2:vgprValuB_X1_I0+2+1], v[vgprLocalReadAddrB] offset:13128 // L -> Reg lro=6500 swapByteOffset=0 ti=16 vIdx=1 rIdx=0 oIdx=0 buffer=1 iui=0
	;; [unrolled: 1-line block ×4, first 2 shown]

/* local read increment a */
/* N/A, lro->6656 */
/* self.localReadDoCntA 0 self.localReadDoCntB 0 */

/* local read increment b */
/* N/A, lro->6760 */
/* self.localReadDoCntA 0 self.localReadDoCntB 0 */
s_waitcnt lgkmcnt(8)                               // lgkmcnt=0 vmcnt=-1wait for prior local read local write old=0, new=8 newLW=0 newLR=0
.align32 8, 0xbf800001                             // align v_pk_fma
MAC_16x16_X0

/* iter 25 */


/* local read a */
_ds_load_b64 v[vgprValuA_X0_I0+0:vgprValuA_X0_I0+0+1], v[vgprLocalReadAddrA] offset:13312 // L -> Reg lro=6656 swapByteOffset=0 ti=16 vIdx=0 rIdx=0 oIdx=0 buffer=0 iui=0
_ds_load_b64 v[vgprValuA_X0_I0+2:vgprValuA_X0_I0+2+1], v[vgprLocalReadAddrA] offset:13440 // L -> Reg lro=6656 swapByteOffset=0 ti=16 vIdx=1 rIdx=0 oIdx=0 buffer=0 iui=0
	;; [unrolled: 1-line block ×4, first 2 shown]

/* local read b */
_ds_load_b64 v[vgprValuB_X0_I0+0:vgprValuB_X0_I0+0+1], v[vgprLocalReadAddrB] offset:13520 // L -> Reg lro=6760 swapByteOffset=0 ti=16 vIdx=0 rIdx=0 oIdx=0 buffer=0 iui=0
_ds_load_b64 v[vgprValuB_X0_I0+2:vgprValuB_X0_I0+2+1], v[vgprLocalReadAddrB] offset:13648 // L -> Reg lro=6760 swapByteOffset=0 ti=16 vIdx=1 rIdx=0 oIdx=0 buffer=0 iui=0
	;; [unrolled: 1-line block ×4, first 2 shown]

/* local read increment a */
/* N/A, lro->6912 */
/* self.localReadDoCntA 0 self.localReadDoCntB 0 */

/* local read increment b */
/* N/A, lro->7020 */
/* self.localReadDoCntA 0 self.localReadDoCntB 0 */
s_waitcnt lgkmcnt(8)                               // lgkmcnt=0 vmcnt=-1wait for prior local read local write old=0, new=8 newLW=0 newLR=0
.align32 8, 0xbf800001                             // align v_pk_fma
MAC_16x16_X1

/* iter 26 */


/* local read a */
_ds_load_b64 v[vgprValuA_X1_I0+0:vgprValuA_X1_I0+0+1], v[vgprLocalReadAddrA] offset:13824 // L -> Reg lro=6912 swapByteOffset=0 ti=16 vIdx=0 rIdx=0 oIdx=0 buffer=1 iui=0
_ds_load_b64 v[vgprValuA_X1_I0+2:vgprValuA_X1_I0+2+1], v[vgprLocalReadAddrA] offset:13952 // L -> Reg lro=6912 swapByteOffset=0 ti=16 vIdx=1 rIdx=0 oIdx=0 buffer=1 iui=0
	;; [unrolled: 1-line block ×4, first 2 shown]

/* local read b */
_ds_load_b64 v[vgprValuB_X1_I0+0:vgprValuB_X1_I0+0+1], v[vgprLocalReadAddrB] offset:14040 // L -> Reg lro=7020 swapByteOffset=0 ti=16 vIdx=0 rIdx=0 oIdx=0 buffer=1 iui=0
_ds_load_b64 v[vgprValuB_X1_I0+2:vgprValuB_X1_I0+2+1], v[vgprLocalReadAddrB] offset:14168 // L -> Reg lro=7020 swapByteOffset=0 ti=16 vIdx=1 rIdx=0 oIdx=0 buffer=1 iui=0
	;; [unrolled: 1-line block ×4, first 2 shown]

/* local read increment a */
/* N/A, lro->7168 */
/* self.localReadDoCntA 0 self.localReadDoCntB 0 */

/* local read increment b */
/* N/A, lro->7280 */
/* self.localReadDoCntA 0 self.localReadDoCntB 0 */
s_waitcnt lgkmcnt(8)                               // lgkmcnt=0 vmcnt=-1wait for prior local read local write old=0, new=8 newLW=0 newLR=0
.align32 8, 0xbf800001                             // align v_pk_fma
MAC_16x16_X0

/* iter 27 */


/* local read a */
_ds_load_b64 v[vgprValuA_X0_I0+0:vgprValuA_X0_I0+0+1], v[vgprLocalReadAddrA] offset:14336 // L -> Reg lro=7168 swapByteOffset=0 ti=16 vIdx=0 rIdx=0 oIdx=0 buffer=0 iui=0
_ds_load_b64 v[vgprValuA_X0_I0+2:vgprValuA_X0_I0+2+1], v[vgprLocalReadAddrA] offset:14464 // L -> Reg lro=7168 swapByteOffset=0 ti=16 vIdx=1 rIdx=0 oIdx=0 buffer=0 iui=0
	;; [unrolled: 1-line block ×4, first 2 shown]

/* local read b */
_ds_load_b64 v[vgprValuB_X0_I0+0:vgprValuB_X0_I0+0+1], v[vgprLocalReadAddrB] offset:14560 // L -> Reg lro=7280 swapByteOffset=0 ti=16 vIdx=0 rIdx=0 oIdx=0 buffer=0 iui=0
_ds_load_b64 v[vgprValuB_X0_I0+2:vgprValuB_X0_I0+2+1], v[vgprLocalReadAddrB] offset:14688 // L -> Reg lro=7280 swapByteOffset=0 ti=16 vIdx=1 rIdx=0 oIdx=0 buffer=0 iui=0
	;; [unrolled: 1-line block ×4, first 2 shown]

/* local read increment a */
/* N/A, lro->7424 */
/* self.localReadDoCntA 0 self.localReadDoCntB 0 */

/* local read increment b */
/* N/A, lro->7540 */
/* self.localReadDoCntA 0 self.localReadDoCntB 0 */
s_waitcnt lgkmcnt(8)                               // lgkmcnt=0 vmcnt=-1wait for prior local read local write old=0, new=8 newLW=0 newLR=0
.align32 8, 0xbf800001                             // align v_pk_fma
MAC_16x16_X1

/* iter 28 */


/* local read a */
_ds_load_b64 v[vgprValuA_X1_I0+0:vgprValuA_X1_I0+0+1], v[vgprLocalReadAddrA] offset:14848 // L -> Reg lro=7424 swapByteOffset=0 ti=16 vIdx=0 rIdx=0 oIdx=0 buffer=1 iui=0
_ds_load_b64 v[vgprValuA_X1_I0+2:vgprValuA_X1_I0+2+1], v[vgprLocalReadAddrA] offset:14976 // L -> Reg lro=7424 swapByteOffset=0 ti=16 vIdx=1 rIdx=0 oIdx=0 buffer=1 iui=0
	;; [unrolled: 1-line block ×4, first 2 shown]

/* local read b */
_ds_load_b64 v[vgprValuB_X1_I0+0:vgprValuB_X1_I0+0+1], v[vgprLocalReadAddrB] offset:15080 // L -> Reg lro=7540 swapByteOffset=0 ti=16 vIdx=0 rIdx=0 oIdx=0 buffer=1 iui=0
_ds_load_b64 v[vgprValuB_X1_I0+2:vgprValuB_X1_I0+2+1], v[vgprLocalReadAddrB] offset:15208 // L -> Reg lro=7540 swapByteOffset=0 ti=16 vIdx=1 rIdx=0 oIdx=0 buffer=1 iui=0
	;; [unrolled: 1-line block ×4, first 2 shown]

/* local read increment a */
/* N/A, lro->7680 */
/* self.localReadDoCntA 0 self.localReadDoCntB 0 */

/* local read increment b */
/* N/A, lro->7800 */
/* self.localReadDoCntA 0 self.localReadDoCntB 0 */
s_waitcnt lgkmcnt(8)                               // lgkmcnt=0 vmcnt=-1wait for prior local read local write old=0, new=8 newLW=0 newLR=0
.align32 8, 0xbf800001                             // align v_pk_fma
MAC_16x16_X0

/* iter 29 */


/* local read a */
_ds_load_b64 v[vgprValuA_X0_I0+0:vgprValuA_X0_I0+0+1], v[vgprLocalReadAddrA] offset:15360 // L -> Reg lro=7680 swapByteOffset=0 ti=16 vIdx=0 rIdx=0 oIdx=0 buffer=0 iui=0
_ds_load_b64 v[vgprValuA_X0_I0+2:vgprValuA_X0_I0+2+1], v[vgprLocalReadAddrA] offset:15488 // L -> Reg lro=7680 swapByteOffset=0 ti=16 vIdx=1 rIdx=0 oIdx=0 buffer=0 iui=0
	;; [unrolled: 1-line block ×4, first 2 shown]

/* local read b */
_ds_load_b64 v[vgprValuB_X0_I0+0:vgprValuB_X0_I0+0+1], v[vgprLocalReadAddrB] offset:15600 // L -> Reg lro=7800 swapByteOffset=0 ti=16 vIdx=0 rIdx=0 oIdx=0 buffer=0 iui=0
_ds_load_b64 v[vgprValuB_X0_I0+2:vgprValuB_X0_I0+2+1], v[vgprLocalReadAddrB] offset:15728 // L -> Reg lro=7800 swapByteOffset=0 ti=16 vIdx=1 rIdx=0 oIdx=0 buffer=0 iui=0
	;; [unrolled: 1-line block ×4, first 2 shown]

/* local read increment a */
/* N/A, lro->7936 */
/* self.localReadDoCntA 0 self.localReadDoCntB 0 */

/* local read increment b */
/* N/A, lro->8060 */
/* self.localReadDoCntA 0 self.localReadDoCntB 0 */
s_waitcnt lgkmcnt(8)                               // lgkmcnt=0 vmcnt=-1wait for prior local read local write old=0, new=8 newLW=0 newLR=0
.align32 8, 0xbf800001                             // align v_pk_fma
MAC_16x16_X1

/* iter 30 (reset local read pointers iteration)  (swap and reset local write pointers iteration)  (swap local read pointers iteration)  */


/* local read a */
_ds_load_b64 v[vgprValuA_X1_I0+0:vgprValuA_X1_I0+0+1], v[vgprLocalReadAddrA] offset:15872 // L -> Reg lro=7936 swapByteOffset=0 ti=16 vIdx=0 rIdx=0 oIdx=0 buffer=1 iui=0
_ds_load_b64 v[vgprValuA_X1_I0+2:vgprValuA_X1_I0+2+1], v[vgprLocalReadAddrA] offset:16000 // L -> Reg lro=7936 swapByteOffset=0 ti=16 vIdx=1 rIdx=0 oIdx=0 buffer=1 iui=0
	;; [unrolled: 1-line block ×4, first 2 shown]

/* local read b */
_ds_load_b64 v[vgprValuB_X1_I0+0:vgprValuB_X1_I0+0+1], v[vgprLocalReadAddrB] offset:16120 // L -> Reg lro=8060 swapByteOffset=0 ti=16 vIdx=0 rIdx=0 oIdx=0 buffer=1 iui=0
_ds_load_b64 v[vgprValuB_X1_I0+2:vgprValuB_X1_I0+2+1], v[vgprLocalReadAddrB] offset:16248 // L -> Reg lro=8060 swapByteOffset=0 ti=16 vIdx=1 rIdx=0 oIdx=0 buffer=1 iui=0
	;; [unrolled: 1-line block ×4, first 2 shown]

/* local read init pointers a */

/* localReadInitPointers */

/* local read init pointers b */

/* localReadInitPointers */
s_waitcnt lgkmcnt(8)                               // lgkmcnt=0 vmcnt=-1wait for prior local read local write old=0, new=8 newLW=0 newLR=0
.align32 8, 0xbf800001                             // align v_pk_fma
MAC_16x16_X0

/* iter 31 */

s_waitcnt lgkmcnt(0)                               // lgkmcnt=0 vmcnt=-1wait for prior local read local write old=0, new=0 newLW=0 newLR=0
.align32 8, 0xbf800001                             // align v_pk_fma
MAC_16x16_X1

/******************************************/
/* Unrolled Loop - End                    */
/******************************************/


/* closeLoop loopL finalLoop=1 tailLoop=0 */
s_sub_u32 s[sgprLoopCounterL], s[sgprLoopCounterL], 1 // dec counterL
s_cmp_eq_i32 s[sgprLoopCounterL], 0x0              // counterL==0
s_cbranch_scc0 LoopBeginL_1                        // restart LoopL
LoopEndL_2:


/* Before NLL: Check VGPR.checkin for INT8 LW */


/******************************************/
/* Tail Loop                              */
/******************************************/


//numIterL = (((sizeL % LOCAL_DEPTHU) + LOCAL_SPLITU - 1) / LOCAL_SPLITU)
s_and_b32 s[sgprLoopCounterL], 31, s[sgprSizesSum+0] // s[sgprLoopCounterL] = s[sgprSizesSum+0] % 32
s_cmp_lg_u32 s[sgprGSUSumIdx], s[sgprGSUSumIdx+1]  // gsuSumIdx == numIterPerWgRemainder
s_cmov_b32 s[sgprLoopCounterL], 0x0                // numIter=0 if gsuSumIdx!=remainder
s_cmp_eq_u32 s[sgprLoopCounterL], 0x0              // numIterL == 0
s_cbranch_scc1 SkipTailLoopL_8                     // skip to end of tail loop b/c numIter==0
s_mov_b32 s[sgprOrigLoopCounter], 0                // repurpose to count each localRead increment


/* remove stagger offsets for tail loop */

s_mov_b32 s66, 2                                   // 
s_mul_hi_u32 s65, s66, s[sgprGlobalReadIncsA+0]    // 2 * GlobalReadIncs
s_mul_i32 s64, s66, s[sgprGlobalReadIncsA+0]       // 2 * GlobalReadIncs
s_mul_hi_u32 s67, s[sgprStaggerUIter], s[sgprGlobalReadIncsA+0] // StaggerUIter * GlobalReadIncs
s_mul_i32 s66, s[sgprStaggerUIter], s[sgprGlobalReadIncsA+0] // StaggerUIter * GlobalReadIncs
s_sub_u32 s64, s64, s66                            // start offset S in bytes
s_subb_u32 s65, s65, s67                           // start offset S in bytes
s_sub_u32 s64, s64, s[sgprWrapUA]                  // S - WrapU
s_subb_u32 s65, s65, s[sgprWrapUA+1]               // S - WrapU
s_add_u32 s[sgprSrdA+0], s[sgprSrdA+0], s64        // gra SRD += inc(lower)
s_addc_u32  s[sgprSrdA+1], s[sgprSrdA+1], s65      // gra SRD += inc(upper)
s_sub_u32 s[sgprShadowLimitA+0], s[sgprShadowLimitA+0], s64 // limit -= inc)
s_subb_u32 s[sgprShadowLimitA+1], s[sgprShadowLimitA+1], s65 // limit -= inc)
s_cmp_eq_u32 s[sgprShadowLimitA+1], 0              // are we within 2^32?
s_cselect_b32 s[sgprSrdA+2], s[sgprShadowLimitA+0], BufferLimitA // Move shadow to real if we are within 2^32

s_mov_b32 s66, 2                                   // 
s_mul_hi_u32 s65, s66, s[sgprGlobalReadIncsB+0]    // 2 * GlobalReadIncs
s_mul_i32 s64, s66, s[sgprGlobalReadIncsB+0]       // 2 * GlobalReadIncs
s_mul_hi_u32 s67, s[sgprStaggerUIter], s[sgprGlobalReadIncsB+0] // StaggerUIter * GlobalReadIncs
s_mul_i32 s66, s[sgprStaggerUIter], s[sgprGlobalReadIncsB+0] // StaggerUIter * GlobalReadIncs
s_sub_u32 s64, s64, s66                            // start offset S in bytes
s_subb_u32 s65, s65, s67                           // start offset S in bytes
s_sub_u32 s64, s64, s[sgprWrapUB]                  // S - WrapU
s_subb_u32 s65, s65, s[sgprWrapUB+1]               // S - WrapU
s_add_u32 s[sgprSrdB+0], s[sgprSrdB+0], s64        // gra SRD += inc(lower)
s_addc_u32  s[sgprSrdB+1], s[sgprSrdB+1], s65      // gra SRD += inc(upper)
s_sub_u32 s[sgprShadowLimitB+0], s[sgprShadowLimitB+0], s64 // limit -= inc)
s_subb_u32 s[sgprShadowLimitB+1], s[sgprShadowLimitB+1], s65 // limit -= inc)
s_cmp_eq_u32 s[sgprShadowLimitB+1], 0              // are we within 2^32?
s_cselect_b32 s[sgprSrdB+2], s[sgprShadowLimitB+0], BufferLimitB // Move shadow to real if we are within 2^32


/* Update M0 for DTLDS */


	;; [unrolled: 1-line block ×3, first 2 shown]
/* global read a */

/* g2l=0, load component 0 */
_buffer_load_d16_b16 v[vgprG2LA+0+0], v[vgprGlobalReadOffsetA+0], s[sgprSrdA:sgprSrdA+3], 0, offen offset:0 // load one buffer value
/* g2l=0, load component 1 */
_buffer_load_d16_hi_b16 v173, v[vgprGlobalReadOffsetA+0], s[sgprSrdA:sgprSrdA+3], 0, offen offset:2 // load one buffer value
s_waitcnt vmcnt(0)
v_or_b32 v[vgprG2LA+0+0], v[vgprG2LA+0+0], v173 // HasEccHalf: pack
/* g2l=0, load component 2 */
_buffer_load_d16_b16 v[vgprG2LA+0+1], v[vgprGlobalReadOffsetA+0], s[sgprSrdA:sgprSrdA+3], 0, offen offset:4 // load one buffer value
/* g2l=0, load component 3 */
_buffer_load_d16_hi_b16 v173, v[vgprGlobalReadOffsetA+0], s[sgprSrdA:sgprSrdA+3], 0, offen offset:6 // load one buffer value
s_waitcnt vmcnt(0)
v_or_b32 v[vgprG2LA+0+1], v[vgprG2LA+0+1], v173 // HasEccHalf: pack
/* g2l=0, load component 4 */
_buffer_load_d16_b16 v[vgprG2LA+0+2], v[vgprGlobalReadOffsetA+0], s[sgprSrdA:sgprSrdA+3], 0, offen offset:8 // load one buffer value
/* g2l=0, load component 5 */
_buffer_load_d16_hi_b16 v173, v[vgprGlobalReadOffsetA+0], s[sgprSrdA:sgprSrdA+3], 0, offen offset:10 // load one buffer value
s_waitcnt vmcnt(0)
v_or_b32 v[vgprG2LA+0+2], v[vgprG2LA+0+2], v173 // HasEccHalf: pack
/* g2l=0, load component 6 */
_buffer_load_d16_b16 v[vgprG2LA+0+3], v[vgprGlobalReadOffsetA+0], s[sgprSrdA:sgprSrdA+3], 0, offen offset:12 // load one buffer value
/* g2l=0, load component 7 */
_buffer_load_d16_hi_b16 v173, v[vgprGlobalReadOffsetA+0], s[sgprSrdA:sgprSrdA+3], 0, offen offset:14 // load one buffer value
s_waitcnt vmcnt(0)
v_or_b32 v[vgprG2LA+0+3], v[vgprG2LA+0+3], v173 // HasEccHalf: pack
/* g2l=4, load component 0 */
_buffer_load_d16_b16 v[vgprG2LA+4+0], v[vgprGlobalReadOffsetA+1], s[sgprSrdA:sgprSrdA+3], 0, offen offset:0 // load one buffer value
/* g2l=4, load component 1 */
_buffer_load_d16_hi_b16 v173, v[vgprGlobalReadOffsetA+1], s[sgprSrdA:sgprSrdA+3], 0, offen offset:2 // load one buffer value
s_waitcnt vmcnt(0)
v_or_b32 v[vgprG2LA+4+0], v[vgprG2LA+4+0], v173 // HasEccHalf: pack
/* g2l=4, load component 2 */
_buffer_load_d16_b16 v[vgprG2LA+4+1], v[vgprGlobalReadOffsetA+1], s[sgprSrdA:sgprSrdA+3], 0, offen offset:4 // load one buffer value
/* g2l=4, load component 3 */
_buffer_load_d16_hi_b16 v173, v[vgprGlobalReadOffsetA+1], s[sgprSrdA:sgprSrdA+3], 0, offen offset:6 // load one buffer value
s_waitcnt vmcnt(0)
v_or_b32 v[vgprG2LA+4+1], v[vgprG2LA+4+1], v173 // HasEccHalf: pack
/* g2l=4, load component 4 */
_buffer_load_d16_b16 v[vgprG2LA+4+2], v[vgprGlobalReadOffsetA+1], s[sgprSrdA:sgprSrdA+3], 0, offen offset:8 // load one buffer value
/* g2l=4, load component 5 */
_buffer_load_d16_hi_b16 v173, v[vgprGlobalReadOffsetA+1], s[sgprSrdA:sgprSrdA+3], 0, offen offset:10 // load one buffer value
s_waitcnt vmcnt(0)
v_or_b32 v[vgprG2LA+4+2], v[vgprG2LA+4+2], v173 // HasEccHalf: pack
/* g2l=4, load component 6 */
_buffer_load_d16_b16 v[vgprG2LA+4+3], v[vgprGlobalReadOffsetA+1], s[sgprSrdA:sgprSrdA+3], 0, offen offset:12 // load one buffer value
/* g2l=4, load component 7 */
_buffer_load_d16_hi_b16 v173, v[vgprGlobalReadOffsetA+1], s[sgprSrdA:sgprSrdA+3], 0, offen offset:14 // load one buffer value
s_waitcnt vmcnt(0)
v_or_b32 v[vgprG2LA+4+3], v[vgprG2LA+4+3], v173 // HasEccHalf: pack
/* g2l=8, load component 0 */
_buffer_load_d16_b16 v[vgprG2LA+8+0], v[vgprGlobalReadOffsetA+2], s[sgprSrdA:sgprSrdA+3], 0, offen offset:0 // load one buffer value
/* g2l=8, load component 1 */
_buffer_load_d16_hi_b16 v173, v[vgprGlobalReadOffsetA+2], s[sgprSrdA:sgprSrdA+3], 0, offen offset:2 // load one buffer value
s_waitcnt vmcnt(0)
v_or_b32 v[vgprG2LA+8+0], v[vgprG2LA+8+0], v173 // HasEccHalf: pack
/* g2l=8, load component 2 */
_buffer_load_d16_b16 v[vgprG2LA+8+1], v[vgprGlobalReadOffsetA+2], s[sgprSrdA:sgprSrdA+3], 0, offen offset:4 // load one buffer value
/* g2l=8, load component 3 */
_buffer_load_d16_hi_b16 v173, v[vgprGlobalReadOffsetA+2], s[sgprSrdA:sgprSrdA+3], 0, offen offset:6 // load one buffer value
s_waitcnt vmcnt(0)
v_or_b32 v[vgprG2LA+8+1], v[vgprG2LA+8+1], v173 // HasEccHalf: pack
/* g2l=8, load component 4 */
_buffer_load_d16_b16 v[vgprG2LA+8+2], v[vgprGlobalReadOffsetA+2], s[sgprSrdA:sgprSrdA+3], 0, offen offset:8 // load one buffer value
/* g2l=8, load component 5 */
_buffer_load_d16_hi_b16 v173, v[vgprGlobalReadOffsetA+2], s[sgprSrdA:sgprSrdA+3], 0, offen offset:10 // load one buffer value
s_waitcnt vmcnt(0)
v_or_b32 v[vgprG2LA+8+2], v[vgprG2LA+8+2], v173 // HasEccHalf: pack
/* g2l=8, load component 6 */
_buffer_load_d16_b16 v[vgprG2LA+8+3], v[vgprGlobalReadOffsetA+2], s[sgprSrdA:sgprSrdA+3], 0, offen offset:12 // load one buffer value
/* g2l=8, load component 7 */
_buffer_load_d16_hi_b16 v173, v[vgprGlobalReadOffsetA+2], s[sgprSrdA:sgprSrdA+3], 0, offen offset:14 // load one buffer value
s_waitcnt vmcnt(0)
v_or_b32 v[vgprG2LA+8+3], v[vgprG2LA+8+3], v173 // HasEccHalf: pack
/* g2l=12, load component 0 */
_buffer_load_d16_b16 v[vgprG2LA+12+0], v[vgprGlobalReadOffsetA+3], s[sgprSrdA:sgprSrdA+3], 0, offen offset:0 // load one buffer value
/* g2l=12, load component 1 */
_buffer_load_d16_hi_b16 v173, v[vgprGlobalReadOffsetA+3], s[sgprSrdA:sgprSrdA+3], 0, offen offset:2 // load one buffer value
s_waitcnt vmcnt(0)
v_or_b32 v[vgprG2LA+12+0], v[vgprG2LA+12+0], v173 // HasEccHalf: pack
/* g2l=12, load component 2 */
_buffer_load_d16_b16 v[vgprG2LA+12+1], v[vgprGlobalReadOffsetA+3], s[sgprSrdA:sgprSrdA+3], 0, offen offset:4 // load one buffer value
/* g2l=12, load component 3 */
_buffer_load_d16_hi_b16 v173, v[vgprGlobalReadOffsetA+3], s[sgprSrdA:sgprSrdA+3], 0, offen offset:6 // load one buffer value
s_waitcnt vmcnt(0)
v_or_b32 v[vgprG2LA+12+1], v[vgprG2LA+12+1], v173 // HasEccHalf: pack
/* g2l=12, load component 4 */
_buffer_load_d16_b16 v[vgprG2LA+12+2], v[vgprGlobalReadOffsetA+3], s[sgprSrdA:sgprSrdA+3], 0, offen offset:8 // load one buffer value
/* g2l=12, load component 5 */
_buffer_load_d16_hi_b16 v173, v[vgprGlobalReadOffsetA+3], s[sgprSrdA:sgprSrdA+3], 0, offen offset:10 // load one buffer value
s_waitcnt vmcnt(0)
v_or_b32 v[vgprG2LA+12+2], v[vgprG2LA+12+2], v173 // HasEccHalf: pack
/* g2l=12, load component 6 */
_buffer_load_d16_b16 v[vgprG2LA+12+3], v[vgprGlobalReadOffsetA+3], s[sgprSrdA:sgprSrdA+3], 0, offen offset:12 // load one buffer value
/* g2l=12, load component 7 */
_buffer_load_d16_hi_b16 v173, v[vgprGlobalReadOffsetA+3], s[sgprSrdA:sgprSrdA+3], 0, offen offset:14 // load one buffer value
s_waitcnt vmcnt(0)
v_or_b32 v[vgprG2LA+12+3], v[vgprG2LA+12+3], v173 // HasEccHalf: pack


/* Update M0 for DTLDS */


	;; [unrolled: 1-line block ×3, first 2 shown]
/* global read b */

/* g2l=0, load component 0 */
_buffer_load_d16_b16 v[vgprG2LB+0+0], v[vgprGlobalReadOffsetB+0], s[sgprSrdB:sgprSrdB+3], 0, offen offset:0 // load one buffer value
/* g2l=0, load component 1 */
_buffer_load_d16_hi_b16 v173, v[vgprGlobalReadOffsetB+0], s[sgprSrdB:sgprSrdB+3], 0, offen offset:2 // load one buffer value
s_waitcnt vmcnt(0)
v_or_b32 v[vgprG2LB+0+0], v[vgprG2LB+0+0], v173 // HasEccHalf: pack
/* g2l=0, load component 2 */
_buffer_load_d16_b16 v[vgprG2LB+0+1], v[vgprGlobalReadOffsetB+0], s[sgprSrdB:sgprSrdB+3], 0, offen offset:4 // load one buffer value
/* g2l=0, load component 3 */
_buffer_load_d16_hi_b16 v173, v[vgprGlobalReadOffsetB+0], s[sgprSrdB:sgprSrdB+3], 0, offen offset:6 // load one buffer value
s_waitcnt vmcnt(0)
v_or_b32 v[vgprG2LB+0+1], v[vgprG2LB+0+1], v173 // HasEccHalf: pack
/* g2l=0, load component 4 */
_buffer_load_d16_b16 v[vgprG2LB+0+2], v[vgprGlobalReadOffsetB+0], s[sgprSrdB:sgprSrdB+3], 0, offen offset:8 // load one buffer value
/* g2l=0, load component 5 */
_buffer_load_d16_hi_b16 v173, v[vgprGlobalReadOffsetB+0], s[sgprSrdB:sgprSrdB+3], 0, offen offset:10 // load one buffer value
s_waitcnt vmcnt(0)
v_or_b32 v[vgprG2LB+0+2], v[vgprG2LB+0+2], v173 // HasEccHalf: pack
/* g2l=0, load component 6 */
_buffer_load_d16_b16 v[vgprG2LB+0+3], v[vgprGlobalReadOffsetB+0], s[sgprSrdB:sgprSrdB+3], 0, offen offset:12 // load one buffer value
/* g2l=0, load component 7 */
_buffer_load_d16_hi_b16 v173, v[vgprGlobalReadOffsetB+0], s[sgprSrdB:sgprSrdB+3], 0, offen offset:14 // load one buffer value
s_waitcnt vmcnt(0)
v_or_b32 v[vgprG2LB+0+3], v[vgprG2LB+0+3], v173 // HasEccHalf: pack
/* g2l=4, load component 0 */
_buffer_load_d16_b16 v[vgprG2LB+4+0], v[vgprGlobalReadOffsetB+1], s[sgprSrdB:sgprSrdB+3], 0, offen offset:0 // load one buffer value
/* g2l=4, load component 1 */
_buffer_load_d16_hi_b16 v173, v[vgprGlobalReadOffsetB+1], s[sgprSrdB:sgprSrdB+3], 0, offen offset:2 // load one buffer value
s_waitcnt vmcnt(0)
v_or_b32 v[vgprG2LB+4+0], v[vgprG2LB+4+0], v173 // HasEccHalf: pack
/* g2l=4, load component 2 */
_buffer_load_d16_b16 v[vgprG2LB+4+1], v[vgprGlobalReadOffsetB+1], s[sgprSrdB:sgprSrdB+3], 0, offen offset:4 // load one buffer value
/* g2l=4, load component 3 */
_buffer_load_d16_hi_b16 v173, v[vgprGlobalReadOffsetB+1], s[sgprSrdB:sgprSrdB+3], 0, offen offset:6 // load one buffer value
s_waitcnt vmcnt(0)
v_or_b32 v[vgprG2LB+4+1], v[vgprG2LB+4+1], v173 // HasEccHalf: pack
/* g2l=4, load component 4 */
_buffer_load_d16_b16 v[vgprG2LB+4+2], v[vgprGlobalReadOffsetB+1], s[sgprSrdB:sgprSrdB+3], 0, offen offset:8 // load one buffer value
/* g2l=4, load component 5 */
_buffer_load_d16_hi_b16 v173, v[vgprGlobalReadOffsetB+1], s[sgprSrdB:sgprSrdB+3], 0, offen offset:10 // load one buffer value
s_waitcnt vmcnt(0)
v_or_b32 v[vgprG2LB+4+2], v[vgprG2LB+4+2], v173 // HasEccHalf: pack
/* g2l=4, load component 6 */
_buffer_load_d16_b16 v[vgprG2LB+4+3], v[vgprGlobalReadOffsetB+1], s[sgprSrdB:sgprSrdB+3], 0, offen offset:12 // load one buffer value
/* g2l=4, load component 7 */
_buffer_load_d16_hi_b16 v173, v[vgprGlobalReadOffsetB+1], s[sgprSrdB:sgprSrdB+3], 0, offen offset:14 // load one buffer value
s_waitcnt vmcnt(0)
v_or_b32 v[vgprG2LB+4+3], v[vgprG2LB+4+3], v173 // HasEccHalf: pack
/* g2l=8, load component 0 */
_buffer_load_d16_b16 v[vgprG2LB+8+0], v[vgprGlobalReadOffsetB+2], s[sgprSrdB:sgprSrdB+3], 0, offen offset:0 // load one buffer value
/* g2l=8, load component 1 */
_buffer_load_d16_hi_b16 v173, v[vgprGlobalReadOffsetB+2], s[sgprSrdB:sgprSrdB+3], 0, offen offset:2 // load one buffer value
s_waitcnt vmcnt(0)
v_or_b32 v[vgprG2LB+8+0], v[vgprG2LB+8+0], v173 // HasEccHalf: pack
/* g2l=8, load component 2 */
_buffer_load_d16_b16 v[vgprG2LB+8+1], v[vgprGlobalReadOffsetB+2], s[sgprSrdB:sgprSrdB+3], 0, offen offset:4 // load one buffer value
/* g2l=8, load component 3 */
_buffer_load_d16_hi_b16 v173, v[vgprGlobalReadOffsetB+2], s[sgprSrdB:sgprSrdB+3], 0, offen offset:6 // load one buffer value
s_waitcnt vmcnt(0)
v_or_b32 v[vgprG2LB+8+1], v[vgprG2LB+8+1], v173 // HasEccHalf: pack
/* g2l=8, load component 4 */
_buffer_load_d16_b16 v[vgprG2LB+8+2], v[vgprGlobalReadOffsetB+2], s[sgprSrdB:sgprSrdB+3], 0, offen offset:8 // load one buffer value
/* g2l=8, load component 5 */
_buffer_load_d16_hi_b16 v173, v[vgprGlobalReadOffsetB+2], s[sgprSrdB:sgprSrdB+3], 0, offen offset:10 // load one buffer value
s_waitcnt vmcnt(0)
v_or_b32 v[vgprG2LB+8+2], v[vgprG2LB+8+2], v173 // HasEccHalf: pack
/* g2l=8, load component 6 */
_buffer_load_d16_b16 v[vgprG2LB+8+3], v[vgprGlobalReadOffsetB+2], s[sgprSrdB:sgprSrdB+3], 0, offen offset:12 // load one buffer value
/* g2l=8, load component 7 */
_buffer_load_d16_hi_b16 v173, v[vgprGlobalReadOffsetB+2], s[sgprSrdB:sgprSrdB+3], 0, offen offset:14 // load one buffer value
s_waitcnt vmcnt(0)
v_or_b32 v[vgprG2LB+8+3], v[vgprG2LB+8+3], v173 // HasEccHalf: pack
/* g2l=12, load component 0 */
_buffer_load_d16_b16 v[vgprG2LB+12+0], v[vgprGlobalReadOffsetB+3], s[sgprSrdB:sgprSrdB+3], 0, offen offset:0 // load one buffer value
/* g2l=12, load component 1 */
_buffer_load_d16_hi_b16 v173, v[vgprGlobalReadOffsetB+3], s[sgprSrdB:sgprSrdB+3], 0, offen offset:2 // load one buffer value
s_waitcnt vmcnt(0)
v_or_b32 v[vgprG2LB+12+0], v[vgprG2LB+12+0], v173 // HasEccHalf: pack
/* g2l=12, load component 2 */
_buffer_load_d16_b16 v[vgprG2LB+12+1], v[vgprGlobalReadOffsetB+3], s[sgprSrdB:sgprSrdB+3], 0, offen offset:4 // load one buffer value
/* g2l=12, load component 3 */
_buffer_load_d16_hi_b16 v173, v[vgprGlobalReadOffsetB+3], s[sgprSrdB:sgprSrdB+3], 0, offen offset:6 // load one buffer value
s_waitcnt vmcnt(0)
v_or_b32 v[vgprG2LB+12+1], v[vgprG2LB+12+1], v173 // HasEccHalf: pack
/* g2l=12, load component 4 */
_buffer_load_d16_b16 v[vgprG2LB+12+2], v[vgprGlobalReadOffsetB+3], s[sgprSrdB:sgprSrdB+3], 0, offen offset:8 // load one buffer value
/* g2l=12, load component 5 */
_buffer_load_d16_hi_b16 v173, v[vgprGlobalReadOffsetB+3], s[sgprSrdB:sgprSrdB+3], 0, offen offset:10 // load one buffer value
s_waitcnt vmcnt(0)
v_or_b32 v[vgprG2LB+12+2], v[vgprG2LB+12+2], v173 // HasEccHalf: pack
/* g2l=12, load component 6 */
_buffer_load_d16_b16 v[vgprG2LB+12+3], v[vgprGlobalReadOffsetB+3], s[sgprSrdB:sgprSrdB+3], 0, offen offset:12 // load one buffer value
/* g2l=12, load component 7 */
_buffer_load_d16_hi_b16 v173, v[vgprGlobalReadOffsetB+3], s[sgprSrdB:sgprSrdB+3], 0, offen offset:14 // load one buffer value
s_waitcnt vmcnt(0)
v_or_b32 v[vgprG2LB+12+3], v[vgprG2LB+12+3], v173 // HasEccHalf: pack

s_waitcnt vmcnt(0)                                 // lgkmcnt=-1 vmcnt=02wait for global read

s_barrier //


/* Done global A/B reads */


	;; [unrolled: 1-line block ×4, first 2 shown]
/* local write a */

_ds_store_b16 v[vgprLocalWriteAddrA], v[vgprG2LA+0:vgprG2LA+0+0] offset:0 // lwoA_0_0_0_0 = (0 + 0*LSCA)*(MT0I+PAD) + (0*LSPA) = 0
_ds_store_b16_d16_hi v[vgprLocalWriteAddrA], v[vgprG2LA+0:vgprG2LA+0+0] offset:512 // lwoA_0_1_0_0 = (1 + 0*LSCA)*(MT0I+PAD) + (0*LSPA) = 512
_ds_store_b16 v[vgprLocalWriteAddrA], v[vgprG2LA+1:vgprG2LA+1+0] offset:1024 // lwoA_0_2_0_0 = (2 + 0*LSCA)*(MT0I+PAD) + (0*LSPA) = 1024
_ds_store_b16_d16_hi v[vgprLocalWriteAddrA], v[vgprG2LA+1:vgprG2LA+1+0] offset:1536 // lwoA_0_3_0_0 = (3 + 0*LSCA)*(MT0I+PAD) + (0*LSPA) = 1536
_ds_store_b16 v[vgprLocalWriteAddrA], v[vgprG2LA+2:vgprG2LA+2+0] offset:2048 // lwoA_0_4_0_0 = (4 + 0*LSCA)*(MT0I+PAD) + (0*LSPA) = 2048
_ds_store_b16_d16_hi v[vgprLocalWriteAddrA], v[vgprG2LA+2:vgprG2LA+2+0] offset:2560 // lwoA_0_5_0_0 = (5 + 0*LSCA)*(MT0I+PAD) + (0*LSPA) = 2560
_ds_store_b16 v[vgprLocalWriteAddrA], v[vgprG2LA+3:vgprG2LA+3+0] offset:3072 // lwoA_0_6_0_0 = (6 + 0*LSCA)*(MT0I+PAD) + (0*LSPA) = 3072
_ds_store_b16_d16_hi v[vgprLocalWriteAddrA], v[vgprG2LA+3:vgprG2LA+3+0] offset:3584 // lwoA_0_7_0_0 = (7 + 0*LSCA)*(MT0I+PAD) + (0*LSPA) = 3584
_ds_store_b16 v[vgprLocalWriteAddrA], v[vgprG2LA+4:vgprG2LA+4+0] offset:128 // lwoA_0_0_1_0 = (0 + 0*LSCA)*(MT0I+PAD) + (1*LSPA) = 128
_ds_store_b16_d16_hi v[vgprLocalWriteAddrA], v[vgprG2LA+4:vgprG2LA+4+0] offset:640 // lwoA_0_1_1_0 = (1 + 0*LSCA)*(MT0I+PAD) + (1*LSPA) = 640
_ds_store_b16 v[vgprLocalWriteAddrA], v[vgprG2LA+5:vgprG2LA+5+0] offset:1152 // lwoA_0_2_1_0 = (2 + 0*LSCA)*(MT0I+PAD) + (1*LSPA) = 1152
_ds_store_b16_d16_hi v[vgprLocalWriteAddrA], v[vgprG2LA+5:vgprG2LA+5+0] offset:1664 // lwoA_0_3_1_0 = (3 + 0*LSCA)*(MT0I+PAD) + (1*LSPA) = 1664
_ds_store_b16 v[vgprLocalWriteAddrA], v[vgprG2LA+6:vgprG2LA+6+0] offset:2176 // lwoA_0_4_1_0 = (4 + 0*LSCA)*(MT0I+PAD) + (1*LSPA) = 2176
_ds_store_b16_d16_hi v[vgprLocalWriteAddrA], v[vgprG2LA+6:vgprG2LA+6+0] offset:2688 // lwoA_0_5_1_0 = (5 + 0*LSCA)*(MT0I+PAD) + (1*LSPA) = 2688
_ds_store_b16 v[vgprLocalWriteAddrA], v[vgprG2LA+7:vgprG2LA+7+0] offset:3200 // lwoA_0_6_1_0 = (6 + 0*LSCA)*(MT0I+PAD) + (1*LSPA) = 3200
_ds_store_b16_d16_hi v[vgprLocalWriteAddrA], v[vgprG2LA+7:vgprG2LA+7+0] offset:3712 // lwoA_0_7_1_0 = (7 + 0*LSCA)*(MT0I+PAD) + (1*LSPA) = 3712
_ds_store_b16 v[vgprLocalWriteAddrA], v[vgprG2LA+8:vgprG2LA+8+0] offset:256 // lwoA_0_0_2_0 = (0 + 0*LSCA)*(MT0I+PAD) + (2*LSPA) = 256
_ds_store_b16_d16_hi v[vgprLocalWriteAddrA], v[vgprG2LA+8:vgprG2LA+8+0] offset:768 // lwoA_0_1_2_0 = (1 + 0*LSCA)*(MT0I+PAD) + (2*LSPA) = 768
_ds_store_b16 v[vgprLocalWriteAddrA], v[vgprG2LA+9:vgprG2LA+9+0] offset:1280 // lwoA_0_2_2_0 = (2 + 0*LSCA)*(MT0I+PAD) + (2*LSPA) = 1280
_ds_store_b16_d16_hi v[vgprLocalWriteAddrA], v[vgprG2LA+9:vgprG2LA+9+0] offset:1792 // lwoA_0_3_2_0 = (3 + 0*LSCA)*(MT0I+PAD) + (2*LSPA) = 1792
_ds_store_b16 v[vgprLocalWriteAddrA], v[vgprG2LA+10:vgprG2LA+10+0] offset:2304 // lwoA_0_4_2_0 = (4 + 0*LSCA)*(MT0I+PAD) + (2*LSPA) = 2304
_ds_store_b16_d16_hi v[vgprLocalWriteAddrA], v[vgprG2LA+10:vgprG2LA+10+0] offset:2816 // lwoA_0_5_2_0 = (5 + 0*LSCA)*(MT0I+PAD) + (2*LSPA) = 2816
_ds_store_b16 v[vgprLocalWriteAddrA], v[vgprG2LA+11:vgprG2LA+11+0] offset:3328 // lwoA_0_6_2_0 = (6 + 0*LSCA)*(MT0I+PAD) + (2*LSPA) = 3328
_ds_store_b16_d16_hi v[vgprLocalWriteAddrA], v[vgprG2LA+11:vgprG2LA+11+0] offset:3840 // lwoA_0_7_2_0 = (7 + 0*LSCA)*(MT0I+PAD) + (2*LSPA) = 3840
_ds_store_b16 v[vgprLocalWriteAddrA], v[vgprG2LA+12:vgprG2LA+12+0] offset:384 // lwoA_0_0_3_0 = (0 + 0*LSCA)*(MT0I+PAD) + (3*LSPA) = 384
_ds_store_b16_d16_hi v[vgprLocalWriteAddrA], v[vgprG2LA+12:vgprG2LA+12+0] offset:896 // lwoA_0_1_3_0 = (1 + 0*LSCA)*(MT0I+PAD) + (3*LSPA) = 896
_ds_store_b16 v[vgprLocalWriteAddrA], v[vgprG2LA+13:vgprG2LA+13+0] offset:1408 // lwoA_0_2_3_0 = (2 + 0*LSCA)*(MT0I+PAD) + (3*LSPA) = 1408
_ds_store_b16_d16_hi v[vgprLocalWriteAddrA], v[vgprG2LA+13:vgprG2LA+13+0] offset:1920 // lwoA_0_3_3_0 = (3 + 0*LSCA)*(MT0I+PAD) + (3*LSPA) = 1920
_ds_store_b16 v[vgprLocalWriteAddrA], v[vgprG2LA+14:vgprG2LA+14+0] offset:2432 // lwoA_0_4_3_0 = (4 + 0*LSCA)*(MT0I+PAD) + (3*LSPA) = 2432
_ds_store_b16_d16_hi v[vgprLocalWriteAddrA], v[vgprG2LA+14:vgprG2LA+14+0] offset:2944 // lwoA_0_5_3_0 = (5 + 0*LSCA)*(MT0I+PAD) + (3*LSPA) = 2944
_ds_store_b16 v[vgprLocalWriteAddrA], v[vgprG2LA+15:vgprG2LA+15+0] offset:3456 // lwoA_0_6_3_0 = (6 + 0*LSCA)*(MT0I+PAD) + (3*LSPA) = 3456
_ds_store_b16_d16_hi v[vgprLocalWriteAddrA], v[vgprG2LA+15:vgprG2LA+15+0] offset:3968 // lwoA_0_7_3_0 = (7 + 0*LSCA)*(MT0I+PAD) + (3*LSPA) = 3968


/* local write b */

_ds_store_b16 v[vgprLocalWriteAddrB], v[vgprG2LB+0:vgprG2LB+0+0] offset:0 // lwoB_0_0_0_0 = (0 + 0*LSCB)*(MT1J+PAD) + (0*LSPB) = 0
_ds_store_b16_d16_hi v[vgprLocalWriteAddrB], v[vgprG2LB+0:vgprG2LB+0+0] offset:520 // lwoB_0_1_0_0 = (1 + 0*LSCB)*(MT1J+PAD) + (0*LSPB) = 520
_ds_store_b16 v[vgprLocalWriteAddrB], v[vgprG2LB+1:vgprG2LB+1+0] offset:1040 // lwoB_0_2_0_0 = (2 + 0*LSCB)*(MT1J+PAD) + (0*LSPB) = 1040
_ds_store_b16_d16_hi v[vgprLocalWriteAddrB], v[vgprG2LB+1:vgprG2LB+1+0] offset:1560 // lwoB_0_3_0_0 = (3 + 0*LSCB)*(MT1J+PAD) + (0*LSPB) = 1560
_ds_store_b16 v[vgprLocalWriteAddrB], v[vgprG2LB+2:vgprG2LB+2+0] offset:2080 // lwoB_0_4_0_0 = (4 + 0*LSCB)*(MT1J+PAD) + (0*LSPB) = 2080
_ds_store_b16_d16_hi v[vgprLocalWriteAddrB], v[vgprG2LB+2:vgprG2LB+2+0] offset:2600 // lwoB_0_5_0_0 = (5 + 0*LSCB)*(MT1J+PAD) + (0*LSPB) = 2600
_ds_store_b16 v[vgprLocalWriteAddrB], v[vgprG2LB+3:vgprG2LB+3+0] offset:3120 // lwoB_0_6_0_0 = (6 + 0*LSCB)*(MT1J+PAD) + (0*LSPB) = 3120
_ds_store_b16_d16_hi v[vgprLocalWriteAddrB], v[vgprG2LB+3:vgprG2LB+3+0] offset:3640 // lwoB_0_7_0_0 = (7 + 0*LSCB)*(MT1J+PAD) + (0*LSPB) = 3640
_ds_store_b16 v[vgprLocalWriteAddrB], v[vgprG2LB+4:vgprG2LB+4+0] offset:128 // lwoB_0_0_1_0 = (0 + 0*LSCB)*(MT1J+PAD) + (1*LSPB) = 128
_ds_store_b16_d16_hi v[vgprLocalWriteAddrB], v[vgprG2LB+4:vgprG2LB+4+0] offset:648 // lwoB_0_1_1_0 = (1 + 0*LSCB)*(MT1J+PAD) + (1*LSPB) = 648
_ds_store_b16 v[vgprLocalWriteAddrB], v[vgprG2LB+5:vgprG2LB+5+0] offset:1168 // lwoB_0_2_1_0 = (2 + 0*LSCB)*(MT1J+PAD) + (1*LSPB) = 1168
_ds_store_b16_d16_hi v[vgprLocalWriteAddrB], v[vgprG2LB+5:vgprG2LB+5+0] offset:1688 // lwoB_0_3_1_0 = (3 + 0*LSCB)*(MT1J+PAD) + (1*LSPB) = 1688
_ds_store_b16 v[vgprLocalWriteAddrB], v[vgprG2LB+6:vgprG2LB+6+0] offset:2208 // lwoB_0_4_1_0 = (4 + 0*LSCB)*(MT1J+PAD) + (1*LSPB) = 2208
_ds_store_b16_d16_hi v[vgprLocalWriteAddrB], v[vgprG2LB+6:vgprG2LB+6+0] offset:2728 // lwoB_0_5_1_0 = (5 + 0*LSCB)*(MT1J+PAD) + (1*LSPB) = 2728
_ds_store_b16 v[vgprLocalWriteAddrB], v[vgprG2LB+7:vgprG2LB+7+0] offset:3248 // lwoB_0_6_1_0 = (6 + 0*LSCB)*(MT1J+PAD) + (1*LSPB) = 3248
_ds_store_b16_d16_hi v[vgprLocalWriteAddrB], v[vgprG2LB+7:vgprG2LB+7+0] offset:3768 // lwoB_0_7_1_0 = (7 + 0*LSCB)*(MT1J+PAD) + (1*LSPB) = 3768
_ds_store_b16 v[vgprLocalWriteAddrB], v[vgprG2LB+8:vgprG2LB+8+0] offset:256 // lwoB_0_0_2_0 = (0 + 0*LSCB)*(MT1J+PAD) + (2*LSPB) = 256
_ds_store_b16_d16_hi v[vgprLocalWriteAddrB], v[vgprG2LB+8:vgprG2LB+8+0] offset:776 // lwoB_0_1_2_0 = (1 + 0*LSCB)*(MT1J+PAD) + (2*LSPB) = 776
_ds_store_b16 v[vgprLocalWriteAddrB], v[vgprG2LB+9:vgprG2LB+9+0] offset:1296 // lwoB_0_2_2_0 = (2 + 0*LSCB)*(MT1J+PAD) + (2*LSPB) = 1296
_ds_store_b16_d16_hi v[vgprLocalWriteAddrB], v[vgprG2LB+9:vgprG2LB+9+0] offset:1816 // lwoB_0_3_2_0 = (3 + 0*LSCB)*(MT1J+PAD) + (2*LSPB) = 1816
_ds_store_b16 v[vgprLocalWriteAddrB], v[vgprG2LB+10:vgprG2LB+10+0] offset:2336 // lwoB_0_4_2_0 = (4 + 0*LSCB)*(MT1J+PAD) + (2*LSPB) = 2336
_ds_store_b16_d16_hi v[vgprLocalWriteAddrB], v[vgprG2LB+10:vgprG2LB+10+0] offset:2856 // lwoB_0_5_2_0 = (5 + 0*LSCB)*(MT1J+PAD) + (2*LSPB) = 2856
_ds_store_b16 v[vgprLocalWriteAddrB], v[vgprG2LB+11:vgprG2LB+11+0] offset:3376 // lwoB_0_6_2_0 = (6 + 0*LSCB)*(MT1J+PAD) + (2*LSPB) = 3376
_ds_store_b16_d16_hi v[vgprLocalWriteAddrB], v[vgprG2LB+11:vgprG2LB+11+0] offset:3896 // lwoB_0_7_2_0 = (7 + 0*LSCB)*(MT1J+PAD) + (2*LSPB) = 3896
_ds_store_b16 v[vgprLocalWriteAddrB], v[vgprG2LB+12:vgprG2LB+12+0] offset:384 // lwoB_0_0_3_0 = (0 + 0*LSCB)*(MT1J+PAD) + (3*LSPB) = 384
_ds_store_b16_d16_hi v[vgprLocalWriteAddrB], v[vgprG2LB+12:vgprG2LB+12+0] offset:904 // lwoB_0_1_3_0 = (1 + 0*LSCB)*(MT1J+PAD) + (3*LSPB) = 904
_ds_store_b16 v[vgprLocalWriteAddrB], v[vgprG2LB+13:vgprG2LB+13+0] offset:1424 // lwoB_0_2_3_0 = (2 + 0*LSCB)*(MT1J+PAD) + (3*LSPB) = 1424
_ds_store_b16_d16_hi v[vgprLocalWriteAddrB], v[vgprG2LB+13:vgprG2LB+13+0] offset:1944 // lwoB_0_3_3_0 = (3 + 0*LSCB)*(MT1J+PAD) + (3*LSPB) = 1944
_ds_store_b16 v[vgprLocalWriteAddrB], v[vgprG2LB+14:vgprG2LB+14+0] offset:2464 // lwoB_0_4_3_0 = (4 + 0*LSCB)*(MT1J+PAD) + (3*LSPB) = 2464
_ds_store_b16_d16_hi v[vgprLocalWriteAddrB], v[vgprG2LB+14:vgprG2LB+14+0] offset:2984 // lwoB_0_5_3_0 = (5 + 0*LSCB)*(MT1J+PAD) + (3*LSPB) = 2984
_ds_store_b16 v[vgprLocalWriteAddrB], v[vgprG2LB+15:vgprG2LB+15+0] offset:3504 // lwoB_0_6_3_0 = (6 + 0*LSCB)*(MT1J+PAD) + (3*LSPB) = 3504
_ds_store_b16_d16_hi v[vgprLocalWriteAddrB], v[vgprG2LB+15:vgprG2LB+15+0] offset:4024 // lwoB_0_7_3_0 = (7 + 0*LSCB)*(MT1J+PAD) + (3*LSPB) = 4024


/* Recalc local read offsets */


s_waitcnt lgkmcnt(0)                               // lgkmcnt=0 vmcnt=-15wait for local write

s_barrier //


/* tail loop: macs */

TailLoopBeginL_6:


/* local read a */

_ds_load_b64 v[vgprValuA_X0_I0+0:vgprValuA_X0_I0+0+1], v[vgprLocalReadAddrA] offset:0 // L -> Reg lro=0 swapByteOffset=0 ti=16 vIdx=0 rIdx=0 oIdx=0 buffer=0 iui=0
_ds_load_b64 v[vgprValuA_X0_I0+2:vgprValuA_X0_I0+2+1], v[vgprLocalReadAddrA] offset:128 // L -> Reg lro=0 swapByteOffset=0 ti=16 vIdx=1 rIdx=0 oIdx=0 buffer=0 iui=0
	;; [unrolled: 1-line block ×4, first 2 shown]


/* local read b */

_ds_load_b64 v[vgprValuB_X0_I0+0:vgprValuB_X0_I0+0+1], v[vgprLocalReadAddrB] offset:0 // L -> Reg lro=0 swapByteOffset=0 ti=16 vIdx=0 rIdx=0 oIdx=0 buffer=0 iui=0
_ds_load_b64 v[vgprValuB_X0_I0+2:vgprValuB_X0_I0+2+1], v[vgprLocalReadAddrB] offset:128 // L -> Reg lro=0 swapByteOffset=0 ti=16 vIdx=1 rIdx=0 oIdx=0 buffer=0 iui=0
	;; [unrolled: 1-line block ×4, first 2 shown]


/* local read inc a */

s_mov_b32 s10, 0x200                               // inc
_v_add_co_u32 v[vgprLocalReadAddrA], vcc, s10, v[vgprLocalReadAddrA] // lrA += 512 (LSU*(MT+PAD)*bpe)


/* local read inc b */

s_mov_b32 s10, 0x208                               // inc
_v_add_co_u32 v[vgprLocalReadAddrB], vcc, s10, v[vgprLocalReadAddrB] // lrB += 520 (LSU*(MT+PAD)*bpe)

s_waitcnt lgkmcnt(0)                               // lgkmcnt=0 vmcnt=-14wait for local read

.align32 8, 0xbf800001                             // align v_pk_fma
MAC_16x16_X0

/* closeLoop loopL finalLoop=1 tailLoop=1 */
s_sub_i32 s[sgprLoopCounterL], s[sgprLoopCounterL], 0x1 // dec counterL (tailLoop)
s_add_u32 s[sgprOrigLoopCounter], s[sgprOrigLoopCounter], 0x1 // inc counterL
s_cmp_le_i32 s[sgprLoopCounterL], 0x0              // counterL<=0
s_cbranch_scc0 TailLoopBeginL_6                    // restart LoopL
TailLoopEndL_7:

SkipTailLoopL_8:

Summation_End_14:
/* endSummation: add vgpr [128...170) to pool */
.set NumFullBlocks, UNDEF
.set WgmRemainder1, UNDEF
.set MagicNumberWgmRemainder1, UNDEF
.set WrapUB, UNDEF
.set GlobalReadIncsA, UNDEF
.set GlobalReadIncsB, UNDEF

s_mov_b32 s[sgprSrdD+0], s[sgprAddressD+0]         // init SRD base address (lower)
s_mov_b32 s[sgprSrdD+1], s[sgprAddressD+1]         // init SRD base address (upper) + other fields
s_mov_b32 s[sgprSrdD+2], BufferOOB                 // 
s_mov_b32 s[sgprSrdD+3], Srd127_96                 // Set bits 127_96 in post-loop SRD

s_mov_b32 s[sgprSrdC+0], s[sgprAddressC+0]         // init SRD base address (lower)
s_mov_b32 s[sgprSrdC+1], s[sgprAddressC+1]         // init SRD base address (upper) + other fields
s_mov_b32 s[sgprSrdC+2], BufferOOB                 // 
s_mov_b32 s[sgprSrdC+3], Srd127_96                 // Set bits 127_96 in post-loop SRD


s_mul_i32 s60, MT1, s[sgprWorkGroup1]              // <- wg1*MT1
s_mul_hi_u32 s59, s60, s[sgprStrideC1J]            // CScale s60 by Stride
s_mul_i32 s58, s60, s[sgprStrideC1J]               // CScale s60 by Stride
s_lshl_b64 s[58:59], s[58:59], 1                   // scale by bpe
s_add_u32 s[sgprSrdC+0], s[sgprAddressC+0], s58    // add lo to SRD
s_addc_u32 s[sgprSrdC+1], s[sgprAddressC+1], s59   // add hi to SRD
s_mul_hi_u32 s59, s60, s[sgprStrideD1J]            // Scale s60 by Stride
s_mul_i32 s58, s60, s[sgprStrideD1J]               // Scale s60 by Stride
s_lshl_b64 s[58:59], s[58:59], 1                   // scale by bpe
s_add_u32 s[sgprSrdD+0], s[sgprAddressD+0], s58    // add lo to SRD
s_addc_u32 s[sgprSrdD+1], s[sgprAddressD+1], s59   // add hi to SRD

s_mul_hi_u32 s59, s[sgprWorkGroup2], s[sgprStrideCK] // CScale s[sgprWorkGroup2] by Stride
s_mul_i32 s58, s[sgprWorkGroup2], s[sgprStrideCK]  // CScale s[sgprWorkGroup2] by Stride
s_lshl_b64 s[58:59], s[58:59], 1                   // scale by bpe
s_add_u32 s[sgprSrdC+0], s[sgprSrdC+0], s58        // add lo to SRD
s_addc_u32 s[sgprSrdC+1], s[sgprSrdC+1], s59       // add hi to SRD
s_mul_hi_u32 s59, s[sgprWorkGroup2], s[sgprStrideDK] // Scale s[sgprWorkGroup2] by Stride
s_mul_i32 s58, s[sgprWorkGroup2], s[sgprStrideDK]  // Scale s[sgprWorkGroup2] by Stride
s_lshl_b64 s[58:59], s[58:59], 1                   // scale by bpe
s_add_u32 s[sgprSrdD+0], s[sgprSrdD+0], s58        // add lo to SRD
s_addc_u32 s[sgprSrdD+1], s[sgprSrdD+1], s59       // add hi to SRD


	;; [unrolled: 1-line block ×4, first 2 shown]
/* not-LocalSplitU: global write indices */

/* computeStoreVgprs */
v_lshrrev_b32 v129, 4, v[vgprSerial]               // v129 = v[vgprSerial] / 16
v_and_b32 v128, 15, v[vgprSerial]                  // v128 = v[vgprSerial] % 16
v_lshlrev_b32 v128, 0x2, v128                      // v128 = v128 * 4
v_lshlrev_b32 v129, 0x2, v129                      // v129 = v129 * 4
v_mul_lo_u32 v130, v129, s[sgprStrideC1J]          // rowStart vgpr
v_mul_lo_u32 v131, v129, s[sgprStrideD1J]          // rowStart vgpr

s_mul_i32 s58, 0x100, s[sgprWorkGroup0]            // s58 = wg0*MT0
_v_add_co_u32 v128, vcc, s58, v128                 // coord0 = tid0*VW + wg0*MT0
s_mul_i32 s60, 0x100, s[sgprWorkGroup1]            // <- wg1*MT1
_v_add_co_u32 v129, vcc, s60, v129                 // coord1 = tid1*VW + wg1*MT1


/* not-LocalSplitU: global write */

s_and_b32 s58, 255, s[sgprSizeI]                   // s58 = s[sgprSizeI] % 256
s_add_u32 s59, -0x1, s[sgprNumWorkGroups0]         // 
s_cmp_ge_u32 s[sgprWorkGroup0], s59                // wg0 >= nwg0-1 ?
s_cselect_b32 s58, s58, 0                          // set rMT0
s_cmpk_gt_u32 s58, 0x0                             // rMT0 > 0
s_cbranch_scc1 GW_B0_E1_20                         // jump if edges required
s_and_b32 s58, 255, s[sgprSizeJ]                   // s58 = s[sgprSizeJ] % 256
s_add_u32 s59, -0x1, s[sgprNumWorkGroups1]         // 
s_cmp_ge_u32 s[sgprWorkGroup1], s59                // wg1 >= nwg1-1
s_cselect_b32 s58, s58, 0                          // set rMT1
s_cmpk_gt_u32 s58, 0x0                             // rMT1 > 0
s_cbranch_scc1 GW_B0_E1_20                         // jump if edges required
GW_B0_E0_17:

/* edge=0, allocate 28 sgpr. perBatchTmpS=4 perBatchMaskS=0 perElementMaskS=4 elementsPerBatch=6 */
/* optSingleColVgpr=0 optSharedColVgpr=0 optSGPRUsage=None optSrdIncForRow=0 */

/******************************************/
/* Global Write Alpha Batch #0 (d1,d0,vc1,vc0) = */
/*    (0,0,0,0:vw4:vaw:2); (0,1,0,0:vw4:vaw:2); (0,2,0,0:vw4:vaw:2); (0,3,0,0:vw4:vaw:2); (0,0,1,0:vw4:vaw:2); (0,1,1,0:vw4:vaw:2) */
/******************************************/

/* calc coords, apply mask, and issue loads (if necessary) */
/* (d1,vc1,d0,vc0)=(0,0,0,0) */
_v_add_lshl_u32 v134, v131, v128, 0x1              // scaleToBpe: accumulate d0 lower and *= bpe into Cin addr
_buffer_load_b64 v[138:139], v134, s[sgprSrdD:sgprSrdD+3], 0, offen offset:0 // load D (atomic) bpm=8 vaw=2
/* (d1,vc1,d0,vc0)=(0,0,1,0) */
_v_add_co_u32 v132, vcc, v128, 64                  // coord0.1: coord0 += d0*sg0*VW + vc0
_v_add_lshl_u32 v135, v131, v132, 0x1              // scaleToBpe: accumulate d0 lower and *= bpe into Cin addr
_buffer_load_b64 v[142:143], v135, s[sgprSrdD:sgprSrdD+3], 0, offen offset:0 // load D (atomic) bpm=8 vaw=2
/* (d1,vc1,d0,vc0)=(0,0,2,0) */
s_mov_b32 s58, 128                                 // coordOffset0 d0=2 vc0=0
_v_add_co_u32 v132, vcc, v128, s58                 // coord0.2: coord0 += d0*sg0*VW + vc0
_v_add_lshl_u32 v144, v131, v132, 0x1              // scaleToBpe: accumulate d0 lower and *= bpe into Cin addr
_buffer_load_b64 v[150:151], v144, s[sgprSrdD:sgprSrdD+3], 0, offen offset:0 // load D (atomic) bpm=8 vaw=2
/* (d1,vc1,d0,vc0)=(0,0,3,0) */
s_mov_b32 s58, 192                                 // coordOffset0 d0=3 vc0=0
_v_add_co_u32 v132, vcc, v128, s58                 // coord0.2: coord0 += d0*sg0*VW + vc0
_v_add_lshl_u32 v145, v131, v132, 0x1              // scaleToBpe: accumulate d0 lower and *= bpe into Cin addr
_buffer_load_b64 v[154:155], v145, s[sgprSrdD:sgprSrdD+3], 0, offen offset:0 // load D (atomic) bpm=8 vaw=2
/* (d1,vc1,d0,vc0)=(0,1,0,0) */

/* Fix for UseInitialStridesCD, emitAddressSetupCode */
_v_add_u32 v130, v130, s[sgprStrideC1J]            // ROWINC- Move cinRowPtr to next row
_v_add_u32 v131, v131, s[sgprStrideD1J]            // Move coutRowPtr to next row
_v_add_lshl_u32 v146, v131, v128, 0x1              // scaleToBpe: accumulate d0 lower and *= bpe into Cin addr
_buffer_load_b64 v[158:159], v146, s[sgprSrdD:sgprSrdD+3], 0, offen offset:0 // load D (atomic) bpm=8 vaw=2
/* (d1,vc1,d0,vc0)=(0,1,1,0) */
_v_add_co_u32 v132, vcc, v128, 64                  // coord0.1: coord0 += d0*sg0*VW + vc0
_v_add_lshl_u32 v147, v131, v132, 0x1              // scaleToBpe: accumulate d0 lower and *= bpe into Cin addr
_buffer_load_b64 v[162:163], v147, s[sgprSrdD:sgprSrdD+3], 0, offen offset:0 // load D (atomic) bpm=8 vaw=2

/* rC *= alpha batchElements=[(0, 0, 0, 0), (0, 1, 0, 0), (0, 2, 0, 0), (0, 3, 0, 0), (0, 0, 1, 0), (0, 1, 1, 0)] */
v_pk_mul_f16 v[vgprValuC+0], s[sgprAlpha], v[vgprValuC+0] // *= alpha sumIdx=0 vi=1
v_pk_mul_f16 v[vgprValuC+1], s[sgprAlpha], v[vgprValuC+1] // *= alpha sumIdx=0 vi=3
	;; [unrolled: 1-line block ×12, first 2 shown]
s_waitcnt vmcnt(0)                                 // wait C (atomic)

/* issue first atomic writes */
v_mov_b32 v137, v138                               // v_mov for reordering loaded data
v_pk_add_f16 v136, v137, v[vgprValuC+0]            // desired value
_buffer_atomic_cmpswap_b32 v[136:137], v134, s[sgprSrdD:sgprSrdD+3] 0 offen offset:0 glc   // attempt write
v_pk_add_f16 v138, v139, v[vgprValuC+1]            // desired value
_buffer_atomic_cmpswap_b32 v[138:139], v134, s[sgprSrdD:sgprSrdD+3] 0 offen offset:4 glc   // attempt write
v_mov_b32 v141, v142                               // v_mov for reordering loaded data
v_pk_add_f16 v140, v141, v[vgprValuC+2]            // desired value
_buffer_atomic_cmpswap_b32 v[140:141], v135, s[sgprSrdD:sgprSrdD+3] 0 offen offset:0 glc   // attempt write
v_pk_add_f16 v142, v143, v[vgprValuC+3]            // desired value
_buffer_atomic_cmpswap_b32 v[142:143], v135, s[sgprSrdD:sgprSrdD+3] 0 offen offset:4 glc   // attempt write
	;; [unrolled: 5-line block ×5, first 2 shown]
v_mov_b32 v161, v162                               // v_mov for reordering loaded data
v_pk_add_f16 v160, v161, v[vgprValuC+10]           // desired value
_buffer_atomic_cmpswap_b32 v[160:161], v147, s[sgprSrdD:sgprSrdD+3] 0 offen offset:0 glc   // attempt write
v_pk_add_f16 v162, v163, v[vgprValuC+11]           // desired value
_buffer_atomic_cmpswap_b32 v[162:163], v147, s[sgprSrdD:sgprSrdD+3] 0 offen offset:4 glc   // attempt write
s_waitcnt vmcnt(0)                                 // wait for atomic writes

/* check success of writes, update masks */
v_cmp_ne_u32 s[62:63], v136, v137                  // c read during atomic != c read during prior load
v_cmp_ne_u32 s[64:65], v138, v139                  // c read during atomic != c read during prior load
	;; [unrolled: 1-line block ×12, first 2 shown]

/* or masks to check for exit */
s_mov_b64 s[58:59], 0x0                            // empty mask
s_or_b64 s[58:59], s[62:63], s[58:59]              // or to add threads
s_or_b64 s[58:59], s[64:65], s[58:59]              // or to add threads
	;; [unrolled: 1-line block ×12, first 2 shown]
s_or_saveexec_b64 s[60:61], s[58:59]               // apply combined mask
s_cbranch_execz label_0028                         // if exec is zero skip loop

/* atomic CAS loop */
label_0027:

/* apply updated masks and issue writes again */
s_mov_b64 exec, s[62:63]                           // must try again
v_mov_b32 v137, v136                               // dataV+1 = tmp (new original C)
v_pk_add_f16 v136, v137, v[vgprValuC+0]            // newC = rC + originalC
_buffer_atomic_cmpswap_b32 v[136:137], v134, s[sgprSrdD:sgprSrdD+3] 0 offen offset:0 glc   // attempt write
s_mov_b64 exec, s[64:65]                           // must try again
v_mov_b32 v139, v138                               // dataV+1 = tmp (new original C)
v_pk_add_f16 v138, v139, v[vgprValuC+1]            // newC = rC + originalC
_buffer_atomic_cmpswap_b32 v[138:139], v134, s[sgprSrdD:sgprSrdD+3] 0 offen offset:4 glc   // attempt write
	;; [unrolled: 4-line block ×10, first 2 shown]
s_mov_b64 exec, s[82:83]                           // must try again
v_mov_b32 v161, v160                               // dataV+1 = tmp (new original C)
v_pk_add_f16 v160, v161, v[vgprValuC+10]           // newC = rC + originalC
_buffer_atomic_cmpswap_b32 v[160:161], v147, s[sgprSrdD:sgprSrdD+3] 0 offen offset:0 glc   // attempt write
s_mov_b64 exec, s[84:85]                           // must try again
v_mov_b32 v163, v162                               // dataV+1 = tmp (new original C)
v_pk_add_f16 v162, v163, v[vgprValuC+11]           // newC = rC + originalC
_buffer_atomic_cmpswap_b32 v[162:163], v147, s[sgprSrdD:sgprSrdD+3] 0 offen offset:4 glc   // attempt write
s_waitcnt vmcnt(0)                                 // wait for atomic writes

/* apply masks and check for success */
s_mov_b64 exec, s[62:63]                           // must try again
v_cmp_ne_u32 s[58:59], v136, v137                  // c read during atomic != c read during prior load
s_and_b64 s[62:63], s[58:59], s[62:63]             // inBounds & must try again
s_mov_b64 exec, s[64:65]                           // must try again
v_cmp_ne_u32 s[58:59], v138, v139                  // c read during atomic != c read during prior load
s_and_b64 s[64:65], s[58:59], s[64:65]             // inBounds & must try again
	;; [unrolled: 3-line block ×12, first 2 shown]

/* or masks to check for exit */
s_mov_b64 s[58:59], 0x0                            // empty mask
s_or_b64 s[58:59], s[62:63], s[58:59]              // or to add threads
s_or_b64 s[58:59], s[64:65], s[58:59]              // or to add threads
	;; [unrolled: 1-line block ×12, first 2 shown]
s_or_saveexec_b64 s[60:61], s[58:59]               // apply combined mask
s_cbranch_execnz label_0027                        // try again if not complete
label_0028:
s_mov_b64 exec, -1                                 // full mask -> exec
/* optSingleColVgpr=0 optSharedColVgpr=0 optSGPRUsage=None optSrdIncForRow=0 */

/******************************************/
/* Global Write Alpha Batch #1 (d1,d0,vc1,vc0) = */
/*    (0,2,1,0:vw4:vaw:2); (0,3,1,0:vw4:vaw:2); (0,0,2,0:vw4:vaw:2); (0,1,2,0:vw4:vaw:2); (0,2,2,0:vw4:vaw:2); (0,3,2,0:vw4:vaw:2) */
/******************************************/

/* calc coords, apply mask, and issue loads (if necessary) */
/* (d1,vc1,d0,vc0)=(0,1,2,0) */
s_mov_b32 s58, 128                                 // coordOffset0 d0=2 vc0=0
_v_add_co_u32 v132, vcc, v128, s58                 // coord0.2: coord0 += d0*sg0*VW + vc0
_v_add_lshl_u32 v134, v131, v132, 0x1              // scaleToBpe: accumulate d0 lower and *= bpe into Cin addr
_buffer_load_b64 v[138:139], v134, s[sgprSrdD:sgprSrdD+3], 0, offen offset:0 // load D (atomic) bpm=8 vaw=2
/* (d1,vc1,d0,vc0)=(0,1,3,0) */
s_mov_b32 s58, 192                                 // coordOffset0 d0=3 vc0=0
_v_add_co_u32 v132, vcc, v128, s58                 // coord0.2: coord0 += d0*sg0*VW + vc0
_v_add_lshl_u32 v135, v131, v132, 0x1              // scaleToBpe: accumulate d0 lower and *= bpe into Cin addr
_buffer_load_b64 v[142:143], v135, s[sgprSrdD:sgprSrdD+3], 0, offen offset:0 // load D (atomic) bpm=8 vaw=2
/* (d1,vc1,d0,vc0)=(0,2,0,0) */

/* Fix for UseInitialStridesCD, emitAddressSetupCode */
_v_add_u32 v130, v130, s[sgprStrideC1J]            // ROWINC- Move cinRowPtr to next row
_v_add_u32 v131, v131, s[sgprStrideD1J]            // Move coutRowPtr to next row
_v_add_lshl_u32 v144, v131, v128, 0x1              // scaleToBpe: accumulate d0 lower and *= bpe into Cin addr
_buffer_load_b64 v[150:151], v144, s[sgprSrdD:sgprSrdD+3], 0, offen offset:0 // load D (atomic) bpm=8 vaw=2
/* (d1,vc1,d0,vc0)=(0,2,1,0) */
_v_add_co_u32 v132, vcc, v128, 64                  // coord0.1: coord0 += d0*sg0*VW + vc0
_v_add_lshl_u32 v145, v131, v132, 0x1              // scaleToBpe: accumulate d0 lower and *= bpe into Cin addr
_buffer_load_b64 v[154:155], v145, s[sgprSrdD:sgprSrdD+3], 0, offen offset:0 // load D (atomic) bpm=8 vaw=2
/* (d1,vc1,d0,vc0)=(0,2,2,0) */
s_mov_b32 s58, 128                                 // coordOffset0 d0=2 vc0=0
_v_add_co_u32 v132, vcc, v128, s58                 // coord0.2: coord0 += d0*sg0*VW + vc0
_v_add_lshl_u32 v146, v131, v132, 0x1              // scaleToBpe: accumulate d0 lower and *= bpe into Cin addr
_buffer_load_b64 v[158:159], v146, s[sgprSrdD:sgprSrdD+3], 0, offen offset:0 // load D (atomic) bpm=8 vaw=2
/* (d1,vc1,d0,vc0)=(0,2,3,0) */
s_mov_b32 s58, 192                                 // coordOffset0 d0=3 vc0=0
_v_add_co_u32 v132, vcc, v128, s58                 // coord0.2: coord0 += d0*sg0*VW + vc0
_v_add_lshl_u32 v147, v131, v132, 0x1              // scaleToBpe: accumulate d0 lower and *= bpe into Cin addr
_buffer_load_b64 v[162:163], v147, s[sgprSrdD:sgprSrdD+3], 0, offen offset:0 // load D (atomic) bpm=8 vaw=2

/* rC *= alpha batchElements=[(0, 2, 1, 0), (0, 3, 1, 0), (0, 0, 2, 0), (0, 1, 2, 0), (0, 2, 2, 0), (0, 3, 2, 0)] */
v_pk_mul_f16 v[vgprValuC+12], s[sgprAlpha], v[vgprValuC+12] // *= alpha sumIdx=24 vi=1
v_pk_mul_f16 v[vgprValuC+13], s[sgprAlpha], v[vgprValuC+13] // *= alpha sumIdx=24 vi=3
	;; [unrolled: 1-line block ×12, first 2 shown]
s_waitcnt vmcnt(0)                                 // wait C (atomic)

/* issue first atomic writes */
v_mov_b32 v137, v138                               // v_mov for reordering loaded data
v_pk_add_f16 v136, v137, v[vgprValuC+12]           // desired value
_buffer_atomic_cmpswap_b32 v[136:137], v134, s[sgprSrdD:sgprSrdD+3] 0 offen offset:0 glc   // attempt write
v_pk_add_f16 v138, v139, v[vgprValuC+13]           // desired value
_buffer_atomic_cmpswap_b32 v[138:139], v134, s[sgprSrdD:sgprSrdD+3] 0 offen offset:4 glc   // attempt write
v_mov_b32 v141, v142                               // v_mov for reordering loaded data
v_pk_add_f16 v140, v141, v[vgprValuC+14]           // desired value
_buffer_atomic_cmpswap_b32 v[140:141], v135, s[sgprSrdD:sgprSrdD+3] 0 offen offset:0 glc   // attempt write
v_pk_add_f16 v142, v143, v[vgprValuC+15]           // desired value
_buffer_atomic_cmpswap_b32 v[142:143], v135, s[sgprSrdD:sgprSrdD+3] 0 offen offset:4 glc   // attempt write
	;; [unrolled: 5-line block ×6, first 2 shown]
s_waitcnt vmcnt(0)                                 // wait for atomic writes

/* check success of writes, update masks */
v_cmp_ne_u32 s[62:63], v136, v137                  // c read during atomic != c read during prior load
v_cmp_ne_u32 s[64:65], v138, v139                  // c read during atomic != c read during prior load
	;; [unrolled: 1-line block ×12, first 2 shown]

/* or masks to check for exit */
s_mov_b64 s[58:59], 0x0                            // empty mask
s_or_b64 s[58:59], s[62:63], s[58:59]              // or to add threads
s_or_b64 s[58:59], s[64:65], s[58:59]              // or to add threads
	;; [unrolled: 1-line block ×12, first 2 shown]
s_or_saveexec_b64 s[60:61], s[58:59]               // apply combined mask
s_cbranch_execz label_0030                         // if exec is zero skip loop

/* atomic CAS loop */
label_0029:

/* apply updated masks and issue writes again */
s_mov_b64 exec, s[62:63]                           // must try again
v_mov_b32 v137, v136                               // dataV+1 = tmp (new original C)
v_pk_add_f16 v136, v137, v[vgprValuC+12]           // newC = rC + originalC
_buffer_atomic_cmpswap_b32 v[136:137], v134, s[sgprSrdD:sgprSrdD+3] 0 offen offset:0 glc   // attempt write
s_mov_b64 exec, s[64:65]                           // must try again
v_mov_b32 v139, v138                               // dataV+1 = tmp (new original C)
v_pk_add_f16 v138, v139, v[vgprValuC+13]           // newC = rC + originalC
_buffer_atomic_cmpswap_b32 v[138:139], v134, s[sgprSrdD:sgprSrdD+3] 0 offen offset:4 glc   // attempt write
	;; [unrolled: 4-line block ×12, first 2 shown]
s_waitcnt vmcnt(0)                                 // wait for atomic writes

/* apply masks and check for success */
s_mov_b64 exec, s[62:63]                           // must try again
v_cmp_ne_u32 s[58:59], v136, v137                  // c read during atomic != c read during prior load
s_and_b64 s[62:63], s[58:59], s[62:63]             // inBounds & must try again
s_mov_b64 exec, s[64:65]                           // must try again
v_cmp_ne_u32 s[58:59], v138, v139                  // c read during atomic != c read during prior load
s_and_b64 s[64:65], s[58:59], s[64:65]             // inBounds & must try again
	;; [unrolled: 3-line block ×12, first 2 shown]

/* or masks to check for exit */
s_mov_b64 s[58:59], 0x0                            // empty mask
s_or_b64 s[58:59], s[62:63], s[58:59]              // or to add threads
s_or_b64 s[58:59], s[64:65], s[58:59]              // or to add threads
	;; [unrolled: 1-line block ×12, first 2 shown]
s_or_saveexec_b64 s[60:61], s[58:59]               // apply combined mask
s_cbranch_execnz label_0029                        // try again if not complete
label_0030:
s_mov_b64 exec, -1                                 // full mask -> exec
/* optSingleColVgpr=0 optSharedColVgpr=0 optSGPRUsage=None optSrdIncForRow=0 */

/******************************************/
/* Global Write Alpha Batch #2 (d1,d0,vc1,vc0) = */
/*    (0,0,3,0:vw4:vaw:2); (0,1,3,0:vw4:vaw:2); (0,2,3,0:vw4:vaw:2); (0,3,3,0:vw4:vaw:2); (1,0,0,0:vw4:vaw:2); (1,1,0,0:vw4:vaw:2) */
/******************************************/

/* calc coords, apply mask, and issue loads (if necessary) */
/* (d1,vc1,d0,vc0)=(0,3,0,0) */

/* Fix for UseInitialStridesCD, emitAddressSetupCode */
_v_add_u32 v130, v130, s[sgprStrideC1J]            // ROWINC- Move cinRowPtr to next row
_v_add_u32 v131, v131, s[sgprStrideD1J]            // Move coutRowPtr to next row
_v_add_lshl_u32 v134, v131, v128, 0x1              // scaleToBpe: accumulate d0 lower and *= bpe into Cin addr
_buffer_load_b64 v[138:139], v134, s[sgprSrdD:sgprSrdD+3], 0, offen offset:0 // load D (atomic) bpm=8 vaw=2
/* (d1,vc1,d0,vc0)=(0,3,1,0) */
_v_add_co_u32 v132, vcc, v128, 64                  // coord0.1: coord0 += d0*sg0*VW + vc0
_v_add_lshl_u32 v135, v131, v132, 0x1              // scaleToBpe: accumulate d0 lower and *= bpe into Cin addr
_buffer_load_b64 v[142:143], v135, s[sgprSrdD:sgprSrdD+3], 0, offen offset:0 // load D (atomic) bpm=8 vaw=2
/* (d1,vc1,d0,vc0)=(0,3,2,0) */
s_mov_b32 s58, 128                                 // coordOffset0 d0=2 vc0=0
_v_add_co_u32 v132, vcc, v128, s58                 // coord0.2: coord0 += d0*sg0*VW + vc0
_v_add_lshl_u32 v144, v131, v132, 0x1              // scaleToBpe: accumulate d0 lower and *= bpe into Cin addr
_buffer_load_b64 v[150:151], v144, s[sgprSrdD:sgprSrdD+3], 0, offen offset:0 // load D (atomic) bpm=8 vaw=2
/* (d1,vc1,d0,vc0)=(0,3,3,0) */
s_mov_b32 s58, 192                                 // coordOffset0 d0=3 vc0=0
_v_add_co_u32 v132, vcc, v128, s58                 // coord0.2: coord0 += d0*sg0*VW + vc0
_v_add_lshl_u32 v145, v131, v132, 0x1              // scaleToBpe: accumulate d0 lower and *= bpe into Cin addr
_buffer_load_b64 v[154:155], v145, s[sgprSrdD:sgprSrdD+3], 0, offen offset:0 // load D (atomic) bpm=8 vaw=2
/* (d1,vc1,d0,vc0)=(1,0,0,0) */

/* Fix for UseInitialStridesCD, emitAddressSetupCode */
s_mul_i32 s58, s[sgprStrideC1J], 61                // scale stride
_v_add_u32 v130, v130, s58                         // ROWINC- Move cinRowPtr to next row
s_mul_i32 s58, s[sgprStrideD1J], 61                // scale stride
_v_add_u32 v131, v131, s58                         // Move coutRowPtr to next row
_v_add_lshl_u32 v146, v131, v128, 0x1              // scaleToBpe: accumulate d0 lower and *= bpe into Cin addr
_buffer_load_b64 v[158:159], v146, s[sgprSrdD:sgprSrdD+3], 0, offen offset:0 // load D (atomic) bpm=8 vaw=2
/* (d1,vc1,d0,vc0)=(1,0,1,0) */
_v_add_co_u32 v132, vcc, v128, 64                  // coord0.1: coord0 += d0*sg0*VW + vc0
_v_add_lshl_u32 v147, v131, v132, 0x1              // scaleToBpe: accumulate d0 lower and *= bpe into Cin addr
_buffer_load_b64 v[162:163], v147, s[sgprSrdD:sgprSrdD+3], 0, offen offset:0 // load D (atomic) bpm=8 vaw=2

/* rC *= alpha batchElements=[(0, 0, 3, 0), (0, 1, 3, 0), (0, 2, 3, 0), (0, 3, 3, 0), (1, 0, 0, 0), (1, 1, 0, 0)] */
v_pk_mul_f16 v[vgprValuC+24], s[sgprAlpha], v[vgprValuC+24] // *= alpha sumIdx=48 vi=1
v_pk_mul_f16 v[vgprValuC+25], s[sgprAlpha], v[vgprValuC+25] // *= alpha sumIdx=48 vi=3
v_pk_mul_f16 v[vgprValuC+26], s[sgprAlpha], v[vgprValuC+26] // *= alpha sumIdx=52 vi=1
v_pk_mul_f16 v[vgprValuC+27], s[sgprAlpha], v[vgprValuC+27] // *= alpha sumIdx=52 vi=3
v_pk_mul_f16 v[vgprValuC+28], s[sgprAlpha], v[vgprValuC+28] // *= alpha sumIdx=56 vi=1
v_pk_mul_f16 v[vgprValuC+29], s[sgprAlpha], v[vgprValuC+29] // *= alpha sumIdx=56 vi=3
v_pk_mul_f16 v[vgprValuC+30], s[sgprAlpha], v[vgprValuC+30] // *= alpha sumIdx=60 vi=1
v_pk_mul_f16 v[vgprValuC+31], s[sgprAlpha], v[vgprValuC+31] // *= alpha sumIdx=60 vi=3
v_pk_mul_f16 v[vgprValuC+32], s[sgprAlpha], v[vgprValuC+32] // *= alpha sumIdx=64 vi=1
v_pk_mul_f16 v[vgprValuC+33], s[sgprAlpha], v[vgprValuC+33] // *= alpha sumIdx=64 vi=3
v_pk_mul_f16 v[vgprValuC+34], s[sgprAlpha], v[vgprValuC+34] // *= alpha sumIdx=68 vi=1
v_pk_mul_f16 v[vgprValuC+35], s[sgprAlpha], v[vgprValuC+35] // *= alpha sumIdx=68 vi=3
s_waitcnt vmcnt(0)                                 // wait C (atomic)

/* issue first atomic writes */
v_mov_b32 v137, v138                               // v_mov for reordering loaded data
v_pk_add_f16 v136, v137, v[vgprValuC+24]           // desired value
_buffer_atomic_cmpswap_b32 v[136:137], v134, s[sgprSrdD:sgprSrdD+3] 0 offen offset:0 glc   // attempt write
v_pk_add_f16 v138, v139, v[vgprValuC+25]           // desired value
_buffer_atomic_cmpswap_b32 v[138:139], v134, s[sgprSrdD:sgprSrdD+3] 0 offen offset:4 glc   // attempt write
v_mov_b32 v141, v142                               // v_mov for reordering loaded data
v_pk_add_f16 v140, v141, v[vgprValuC+26]           // desired value
_buffer_atomic_cmpswap_b32 v[140:141], v135, s[sgprSrdD:sgprSrdD+3] 0 offen offset:0 glc   // attempt write
v_pk_add_f16 v142, v143, v[vgprValuC+27]           // desired value
_buffer_atomic_cmpswap_b32 v[142:143], v135, s[sgprSrdD:sgprSrdD+3] 0 offen offset:4 glc   // attempt write
	;; [unrolled: 5-line block ×6, first 2 shown]
s_waitcnt vmcnt(0)                                 // wait for atomic writes

/* check success of writes, update masks */
v_cmp_ne_u32 s[62:63], v136, v137                  // c read during atomic != c read during prior load
v_cmp_ne_u32 s[64:65], v138, v139                  // c read during atomic != c read during prior load
	;; [unrolled: 1-line block ×12, first 2 shown]

/* or masks to check for exit */
s_mov_b64 s[58:59], 0x0                            // empty mask
s_or_b64 s[58:59], s[62:63], s[58:59]              // or to add threads
s_or_b64 s[58:59], s[64:65], s[58:59]              // or to add threads
	;; [unrolled: 1-line block ×12, first 2 shown]
s_or_saveexec_b64 s[60:61], s[58:59]               // apply combined mask
s_cbranch_execz label_0032                         // if exec is zero skip loop

/* atomic CAS loop */
label_0031:

/* apply updated masks and issue writes again */
s_mov_b64 exec, s[62:63]                           // must try again
v_mov_b32 v137, v136                               // dataV+1 = tmp (new original C)
v_pk_add_f16 v136, v137, v[vgprValuC+24]           // newC = rC + originalC
_buffer_atomic_cmpswap_b32 v[136:137], v134, s[sgprSrdD:sgprSrdD+3] 0 offen offset:0 glc   // attempt write
s_mov_b64 exec, s[64:65]                           // must try again
v_mov_b32 v139, v138                               // dataV+1 = tmp (new original C)
v_pk_add_f16 v138, v139, v[vgprValuC+25]           // newC = rC + originalC
_buffer_atomic_cmpswap_b32 v[138:139], v134, s[sgprSrdD:sgprSrdD+3] 0 offen offset:4 glc   // attempt write
	;; [unrolled: 4-line block ×12, first 2 shown]
s_waitcnt vmcnt(0)                                 // wait for atomic writes

/* apply masks and check for success */
s_mov_b64 exec, s[62:63]                           // must try again
v_cmp_ne_u32 s[58:59], v136, v137                  // c read during atomic != c read during prior load
s_and_b64 s[62:63], s[58:59], s[62:63]             // inBounds & must try again
s_mov_b64 exec, s[64:65]                           // must try again
v_cmp_ne_u32 s[58:59], v138, v139                  // c read during atomic != c read during prior load
s_and_b64 s[64:65], s[58:59], s[64:65]             // inBounds & must try again
	;; [unrolled: 3-line block ×12, first 2 shown]

/* or masks to check for exit */
s_mov_b64 s[58:59], 0x0                            // empty mask
s_or_b64 s[58:59], s[62:63], s[58:59]              // or to add threads
s_or_b64 s[58:59], s[64:65], s[58:59]              // or to add threads
	;; [unrolled: 1-line block ×12, first 2 shown]
s_or_saveexec_b64 s[60:61], s[58:59]               // apply combined mask
s_cbranch_execnz label_0031                        // try again if not complete
label_0032:
s_mov_b64 exec, -1                                 // full mask -> exec
/* optSingleColVgpr=0 optSharedColVgpr=0 optSGPRUsage=None optSrdIncForRow=0 */

/******************************************/
/* Global Write Alpha Batch #3 (d1,d0,vc1,vc0) = */
/*    (1,2,0,0:vw4:vaw:2); (1,3,0,0:vw4:vaw:2); (1,0,1,0:vw4:vaw:2); (1,1,1,0:vw4:vaw:2); (1,2,1,0:vw4:vaw:2); (1,3,1,0:vw4:vaw:2) */
/******************************************/

/* calc coords, apply mask, and issue loads (if necessary) */
/* (d1,vc1,d0,vc0)=(1,0,2,0) */
s_mov_b32 s58, 128                                 // coordOffset0 d0=2 vc0=0
_v_add_co_u32 v132, vcc, v128, s58                 // coord0.2: coord0 += d0*sg0*VW + vc0
_v_add_lshl_u32 v134, v131, v132, 0x1              // scaleToBpe: accumulate d0 lower and *= bpe into Cin addr
_buffer_load_b64 v[138:139], v134, s[sgprSrdD:sgprSrdD+3], 0, offen offset:0 // load D (atomic) bpm=8 vaw=2
/* (d1,vc1,d0,vc0)=(1,0,3,0) */
s_mov_b32 s58, 192                                 // coordOffset0 d0=3 vc0=0
_v_add_co_u32 v132, vcc, v128, s58                 // coord0.2: coord0 += d0*sg0*VW + vc0
_v_add_lshl_u32 v135, v131, v132, 0x1              // scaleToBpe: accumulate d0 lower and *= bpe into Cin addr
_buffer_load_b64 v[142:143], v135, s[sgprSrdD:sgprSrdD+3], 0, offen offset:0 // load D (atomic) bpm=8 vaw=2
/* (d1,vc1,d0,vc0)=(1,1,0,0) */

/* Fix for UseInitialStridesCD, emitAddressSetupCode */
_v_add_u32 v130, v130, s[sgprStrideC1J]            // ROWINC- Move cinRowPtr to next row
_v_add_u32 v131, v131, s[sgprStrideD1J]            // Move coutRowPtr to next row
_v_add_lshl_u32 v144, v131, v128, 0x1              // scaleToBpe: accumulate d0 lower and *= bpe into Cin addr
_buffer_load_b64 v[150:151], v144, s[sgprSrdD:sgprSrdD+3], 0, offen offset:0 // load D (atomic) bpm=8 vaw=2
/* (d1,vc1,d0,vc0)=(1,1,1,0) */
_v_add_co_u32 v132, vcc, v128, 64                  // coord0.1: coord0 += d0*sg0*VW + vc0
_v_add_lshl_u32 v145, v131, v132, 0x1              // scaleToBpe: accumulate d0 lower and *= bpe into Cin addr
_buffer_load_b64 v[154:155], v145, s[sgprSrdD:sgprSrdD+3], 0, offen offset:0 // load D (atomic) bpm=8 vaw=2
/* (d1,vc1,d0,vc0)=(1,1,2,0) */
s_mov_b32 s58, 128                                 // coordOffset0 d0=2 vc0=0
_v_add_co_u32 v132, vcc, v128, s58                 // coord0.2: coord0 += d0*sg0*VW + vc0
_v_add_lshl_u32 v146, v131, v132, 0x1              // scaleToBpe: accumulate d0 lower and *= bpe into Cin addr
_buffer_load_b64 v[158:159], v146, s[sgprSrdD:sgprSrdD+3], 0, offen offset:0 // load D (atomic) bpm=8 vaw=2
/* (d1,vc1,d0,vc0)=(1,1,3,0) */
s_mov_b32 s58, 192                                 // coordOffset0 d0=3 vc0=0
_v_add_co_u32 v132, vcc, v128, s58                 // coord0.2: coord0 += d0*sg0*VW + vc0
_v_add_lshl_u32 v147, v131, v132, 0x1              // scaleToBpe: accumulate d0 lower and *= bpe into Cin addr
_buffer_load_b64 v[162:163], v147, s[sgprSrdD:sgprSrdD+3], 0, offen offset:0 // load D (atomic) bpm=8 vaw=2

/* rC *= alpha batchElements=[(1, 2, 0, 0), (1, 3, 0, 0), (1, 0, 1, 0), (1, 1, 1, 0), (1, 2, 1, 0), (1, 3, 1, 0)] */
v_pk_mul_f16 v[vgprValuC+36], s[sgprAlpha], v[vgprValuC+36] // *= alpha sumIdx=72 vi=1
v_pk_mul_f16 v[vgprValuC+37], s[sgprAlpha], v[vgprValuC+37] // *= alpha sumIdx=72 vi=3
	;; [unrolled: 1-line block ×12, first 2 shown]
s_waitcnt vmcnt(0)                                 // wait C (atomic)

/* issue first atomic writes */
v_mov_b32 v137, v138                               // v_mov for reordering loaded data
v_pk_add_f16 v136, v137, v[vgprValuC+36]           // desired value
_buffer_atomic_cmpswap_b32 v[136:137], v134, s[sgprSrdD:sgprSrdD+3] 0 offen offset:0 glc   // attempt write
v_pk_add_f16 v138, v139, v[vgprValuC+37]           // desired value
_buffer_atomic_cmpswap_b32 v[138:139], v134, s[sgprSrdD:sgprSrdD+3] 0 offen offset:4 glc   // attempt write
v_mov_b32 v141, v142                               // v_mov for reordering loaded data
v_pk_add_f16 v140, v141, v[vgprValuC+38]           // desired value
_buffer_atomic_cmpswap_b32 v[140:141], v135, s[sgprSrdD:sgprSrdD+3] 0 offen offset:0 glc   // attempt write
v_pk_add_f16 v142, v143, v[vgprValuC+39]           // desired value
_buffer_atomic_cmpswap_b32 v[142:143], v135, s[sgprSrdD:sgprSrdD+3] 0 offen offset:4 glc   // attempt write
v_mov_b32 v149, v150                               // v_mov for reordering loaded data
v_pk_add_f16 v148, v149, v[vgprValuC+40]           // desired value
_buffer_atomic_cmpswap_b32 v[148:149], v144, s[sgprSrdD:sgprSrdD+3] 0 offen offset:0 glc   // attempt write
v_pk_add_f16 v150, v151, v[vgprValuC+41]           // desired value
_buffer_atomic_cmpswap_b32 v[150:151], v144, s[sgprSrdD:sgprSrdD+3] 0 offen offset:4 glc   // attempt write
v_mov_b32 v153, v154                               // v_mov for reordering loaded data
v_pk_add_f16 v152, v153, v[vgprValuC+42]           // desired value
_buffer_atomic_cmpswap_b32 v[152:153], v145, s[sgprSrdD:sgprSrdD+3] 0 offen offset:0 glc   // attempt write
v_pk_add_f16 v154, v155, v[vgprValuC+43]           // desired value
_buffer_atomic_cmpswap_b32 v[154:155], v145, s[sgprSrdD:sgprSrdD+3] 0 offen offset:4 glc   // attempt write
v_mov_b32 v157, v158                               // v_mov for reordering loaded data
v_pk_add_f16 v156, v157, v[vgprValuC+44]           // desired value
_buffer_atomic_cmpswap_b32 v[156:157], v146, s[sgprSrdD:sgprSrdD+3] 0 offen offset:0 glc   // attempt write
v_pk_add_f16 v158, v159, v[vgprValuC+45]           // desired value
_buffer_atomic_cmpswap_b32 v[158:159], v146, s[sgprSrdD:sgprSrdD+3] 0 offen offset:4 glc   // attempt write
v_mov_b32 v161, v162                               // v_mov for reordering loaded data
v_pk_add_f16 v160, v161, v[vgprValuC+46]           // desired value
_buffer_atomic_cmpswap_b32 v[160:161], v147, s[sgprSrdD:sgprSrdD+3] 0 offen offset:0 glc   // attempt write
v_pk_add_f16 v162, v163, v[vgprValuC+47]           // desired value
_buffer_atomic_cmpswap_b32 v[162:163], v147, s[sgprSrdD:sgprSrdD+3] 0 offen offset:4 glc   // attempt write
s_waitcnt vmcnt(0)                                 // wait for atomic writes

/* check success of writes, update masks */
v_cmp_ne_u32 s[62:63], v136, v137                  // c read during atomic != c read during prior load
v_cmp_ne_u32 s[64:65], v138, v139                  // c read during atomic != c read during prior load
	;; [unrolled: 1-line block ×12, first 2 shown]

/* or masks to check for exit */
s_mov_b64 s[58:59], 0x0                            // empty mask
s_or_b64 s[58:59], s[62:63], s[58:59]              // or to add threads
s_or_b64 s[58:59], s[64:65], s[58:59]              // or to add threads
	;; [unrolled: 1-line block ×12, first 2 shown]
s_or_saveexec_b64 s[60:61], s[58:59]               // apply combined mask
s_cbranch_execz label_0034                         // if exec is zero skip loop

/* atomic CAS loop */
label_0033:

/* apply updated masks and issue writes again */
s_mov_b64 exec, s[62:63]                           // must try again
v_mov_b32 v137, v136                               // dataV+1 = tmp (new original C)
v_pk_add_f16 v136, v137, v[vgprValuC+36]           // newC = rC + originalC
_buffer_atomic_cmpswap_b32 v[136:137], v134, s[sgprSrdD:sgprSrdD+3] 0 offen offset:0 glc   // attempt write
s_mov_b64 exec, s[64:65]                           // must try again
v_mov_b32 v139, v138                               // dataV+1 = tmp (new original C)
v_pk_add_f16 v138, v139, v[vgprValuC+37]           // newC = rC + originalC
_buffer_atomic_cmpswap_b32 v[138:139], v134, s[sgprSrdD:sgprSrdD+3] 0 offen offset:4 glc   // attempt write
	;; [unrolled: 4-line block ×12, first 2 shown]
s_waitcnt vmcnt(0)                                 // wait for atomic writes

/* apply masks and check for success */
s_mov_b64 exec, s[62:63]                           // must try again
v_cmp_ne_u32 s[58:59], v136, v137                  // c read during atomic != c read during prior load
s_and_b64 s[62:63], s[58:59], s[62:63]             // inBounds & must try again
s_mov_b64 exec, s[64:65]                           // must try again
v_cmp_ne_u32 s[58:59], v138, v139                  // c read during atomic != c read during prior load
s_and_b64 s[64:65], s[58:59], s[64:65]             // inBounds & must try again
	;; [unrolled: 3-line block ×12, first 2 shown]

/* or masks to check for exit */
s_mov_b64 s[58:59], 0x0                            // empty mask
s_or_b64 s[58:59], s[62:63], s[58:59]              // or to add threads
s_or_b64 s[58:59], s[64:65], s[58:59]              // or to add threads
	;; [unrolled: 1-line block ×12, first 2 shown]
s_or_saveexec_b64 s[60:61], s[58:59]               // apply combined mask
s_cbranch_execnz label_0033                        // try again if not complete
label_0034:
s_mov_b64 exec, -1                                 // full mask -> exec
/* optSingleColVgpr=0 optSharedColVgpr=0 optSGPRUsage=None optSrdIncForRow=0 */

/******************************************/
/* Global Write Alpha Batch #4 (d1,d0,vc1,vc0) = */
/*    (1,0,2,0:vw4:vaw:2); (1,1,2,0:vw4:vaw:2); (1,2,2,0:vw4:vaw:2); (1,3,2,0:vw4:vaw:2); (1,0,3,0:vw4:vaw:2); (1,1,3,0:vw4:vaw:2) */
/******************************************/

/* calc coords, apply mask, and issue loads (if necessary) */
/* (d1,vc1,d0,vc0)=(1,2,0,0) */

/* Fix for UseInitialStridesCD, emitAddressSetupCode */
_v_add_u32 v130, v130, s[sgprStrideC1J]            // ROWINC- Move cinRowPtr to next row
_v_add_u32 v131, v131, s[sgprStrideD1J]            // Move coutRowPtr to next row
_v_add_lshl_u32 v134, v131, v128, 0x1              // scaleToBpe: accumulate d0 lower and *= bpe into Cin addr
_buffer_load_b64 v[138:139], v134, s[sgprSrdD:sgprSrdD+3], 0, offen offset:0 // load D (atomic) bpm=8 vaw=2
/* (d1,vc1,d0,vc0)=(1,2,1,0) */
_v_add_co_u32 v132, vcc, v128, 64                  // coord0.1: coord0 += d0*sg0*VW + vc0
_v_add_lshl_u32 v135, v131, v132, 0x1              // scaleToBpe: accumulate d0 lower and *= bpe into Cin addr
_buffer_load_b64 v[142:143], v135, s[sgprSrdD:sgprSrdD+3], 0, offen offset:0 // load D (atomic) bpm=8 vaw=2
/* (d1,vc1,d0,vc0)=(1,2,2,0) */
s_mov_b32 s58, 128                                 // coordOffset0 d0=2 vc0=0
_v_add_co_u32 v132, vcc, v128, s58                 // coord0.2: coord0 += d0*sg0*VW + vc0
_v_add_lshl_u32 v144, v131, v132, 0x1              // scaleToBpe: accumulate d0 lower and *= bpe into Cin addr
_buffer_load_b64 v[150:151], v144, s[sgprSrdD:sgprSrdD+3], 0, offen offset:0 // load D (atomic) bpm=8 vaw=2
/* (d1,vc1,d0,vc0)=(1,2,3,0) */
s_mov_b32 s58, 192                                 // coordOffset0 d0=3 vc0=0
_v_add_co_u32 v132, vcc, v128, s58                 // coord0.2: coord0 += d0*sg0*VW + vc0
_v_add_lshl_u32 v145, v131, v132, 0x1              // scaleToBpe: accumulate d0 lower and *= bpe into Cin addr
_buffer_load_b64 v[154:155], v145, s[sgprSrdD:sgprSrdD+3], 0, offen offset:0 // load D (atomic) bpm=8 vaw=2
/* (d1,vc1,d0,vc0)=(1,3,0,0) */

/* Fix for UseInitialStridesCD, emitAddressSetupCode */
_v_add_u32 v130, v130, s[sgprStrideC1J]            // ROWINC- Move cinRowPtr to next row
_v_add_u32 v131, v131, s[sgprStrideD1J]            // Move coutRowPtr to next row
_v_add_lshl_u32 v146, v131, v128, 0x1              // scaleToBpe: accumulate d0 lower and *= bpe into Cin addr
_buffer_load_b64 v[158:159], v146, s[sgprSrdD:sgprSrdD+3], 0, offen offset:0 // load D (atomic) bpm=8 vaw=2
/* (d1,vc1,d0,vc0)=(1,3,1,0) */
_v_add_co_u32 v132, vcc, v128, 64                  // coord0.1: coord0 += d0*sg0*VW + vc0
_v_add_lshl_u32 v147, v131, v132, 0x1              // scaleToBpe: accumulate d0 lower and *= bpe into Cin addr
_buffer_load_b64 v[162:163], v147, s[sgprSrdD:sgprSrdD+3], 0, offen offset:0 // load D (atomic) bpm=8 vaw=2

/* rC *= alpha batchElements=[(1, 0, 2, 0), (1, 1, 2, 0), (1, 2, 2, 0), (1, 3, 2, 0), (1, 0, 3, 0), (1, 1, 3, 0)] */
v_pk_mul_f16 v[vgprValuC+48], s[sgprAlpha], v[vgprValuC+48] // *= alpha sumIdx=96 vi=1
v_pk_mul_f16 v[vgprValuC+49], s[sgprAlpha], v[vgprValuC+49] // *= alpha sumIdx=96 vi=3
v_pk_mul_f16 v[vgprValuC+50], s[sgprAlpha], v[vgprValuC+50] // *= alpha sumIdx=100 vi=1
v_pk_mul_f16 v[vgprValuC+51], s[sgprAlpha], v[vgprValuC+51] // *= alpha sumIdx=100 vi=3
v_pk_mul_f16 v[vgprValuC+52], s[sgprAlpha], v[vgprValuC+52] // *= alpha sumIdx=104 vi=1
v_pk_mul_f16 v[vgprValuC+53], s[sgprAlpha], v[vgprValuC+53] // *= alpha sumIdx=104 vi=3
v_pk_mul_f16 v[vgprValuC+54], s[sgprAlpha], v[vgprValuC+54] // *= alpha sumIdx=108 vi=1
v_pk_mul_f16 v[vgprValuC+55], s[sgprAlpha], v[vgprValuC+55] // *= alpha sumIdx=108 vi=3
v_pk_mul_f16 v[vgprValuC+56], s[sgprAlpha], v[vgprValuC+56] // *= alpha sumIdx=112 vi=1
v_pk_mul_f16 v[vgprValuC+57], s[sgprAlpha], v[vgprValuC+57] // *= alpha sumIdx=112 vi=3
v_pk_mul_f16 v[vgprValuC+58], s[sgprAlpha], v[vgprValuC+58] // *= alpha sumIdx=116 vi=1
v_pk_mul_f16 v[vgprValuC+59], s[sgprAlpha], v[vgprValuC+59] // *= alpha sumIdx=116 vi=3
s_waitcnt vmcnt(0)                                 // wait C (atomic)

/* issue first atomic writes */
v_mov_b32 v137, v138                               // v_mov for reordering loaded data
v_pk_add_f16 v136, v137, v[vgprValuC+48]           // desired value
_buffer_atomic_cmpswap_b32 v[136:137], v134, s[sgprSrdD:sgprSrdD+3] 0 offen offset:0 glc   // attempt write
v_pk_add_f16 v138, v139, v[vgprValuC+49]           // desired value
_buffer_atomic_cmpswap_b32 v[138:139], v134, s[sgprSrdD:sgprSrdD+3] 0 offen offset:4 glc   // attempt write
v_mov_b32 v141, v142                               // v_mov for reordering loaded data
v_pk_add_f16 v140, v141, v[vgprValuC+50]           // desired value
_buffer_atomic_cmpswap_b32 v[140:141], v135, s[sgprSrdD:sgprSrdD+3] 0 offen offset:0 glc   // attempt write
v_pk_add_f16 v142, v143, v[vgprValuC+51]           // desired value
_buffer_atomic_cmpswap_b32 v[142:143], v135, s[sgprSrdD:sgprSrdD+3] 0 offen offset:4 glc   // attempt write
	;; [unrolled: 5-line block ×6, first 2 shown]
s_waitcnt vmcnt(0)                                 // wait for atomic writes

/* check success of writes, update masks */
v_cmp_ne_u32 s[62:63], v136, v137                  // c read during atomic != c read during prior load
v_cmp_ne_u32 s[64:65], v138, v139                  // c read during atomic != c read during prior load
	;; [unrolled: 1-line block ×12, first 2 shown]

/* or masks to check for exit */
s_mov_b64 s[58:59], 0x0                            // empty mask
s_or_b64 s[58:59], s[62:63], s[58:59]              // or to add threads
s_or_b64 s[58:59], s[64:65], s[58:59]              // or to add threads
	;; [unrolled: 1-line block ×12, first 2 shown]
s_or_saveexec_b64 s[60:61], s[58:59]               // apply combined mask
s_cbranch_execz label_0036                         // if exec is zero skip loop

/* atomic CAS loop */
label_0035:

/* apply updated masks and issue writes again */
s_mov_b64 exec, s[62:63]                           // must try again
v_mov_b32 v137, v136                               // dataV+1 = tmp (new original C)
v_pk_add_f16 v136, v137, v[vgprValuC+48]           // newC = rC + originalC
_buffer_atomic_cmpswap_b32 v[136:137], v134, s[sgprSrdD:sgprSrdD+3] 0 offen offset:0 glc   // attempt write
s_mov_b64 exec, s[64:65]                           // must try again
v_mov_b32 v139, v138                               // dataV+1 = tmp (new original C)
v_pk_add_f16 v138, v139, v[vgprValuC+49]           // newC = rC + originalC
_buffer_atomic_cmpswap_b32 v[138:139], v134, s[sgprSrdD:sgprSrdD+3] 0 offen offset:4 glc   // attempt write
	;; [unrolled: 4-line block ×12, first 2 shown]
s_waitcnt vmcnt(0)                                 // wait for atomic writes

/* apply masks and check for success */
s_mov_b64 exec, s[62:63]                           // must try again
v_cmp_ne_u32 s[58:59], v136, v137                  // c read during atomic != c read during prior load
s_and_b64 s[62:63], s[58:59], s[62:63]             // inBounds & must try again
s_mov_b64 exec, s[64:65]                           // must try again
v_cmp_ne_u32 s[58:59], v138, v139                  // c read during atomic != c read during prior load
s_and_b64 s[64:65], s[58:59], s[64:65]             // inBounds & must try again
	;; [unrolled: 3-line block ×12, first 2 shown]

/* or masks to check for exit */
s_mov_b64 s[58:59], 0x0                            // empty mask
s_or_b64 s[58:59], s[62:63], s[58:59]              // or to add threads
s_or_b64 s[58:59], s[64:65], s[58:59]              // or to add threads
	;; [unrolled: 1-line block ×12, first 2 shown]
s_or_saveexec_b64 s[60:61], s[58:59]               // apply combined mask
s_cbranch_execnz label_0035                        // try again if not complete
label_0036:
s_mov_b64 exec, -1                                 // full mask -> exec
/* optSingleColVgpr=0 optSharedColVgpr=0 optSGPRUsage=None optSrdIncForRow=0 */

/******************************************/
/* Global Write Alpha Batch #5 (d1,d0,vc1,vc0) = */
/*    (1,2,3,0:vw4:vaw:2); (1,3,3,0:vw4:vaw:2); (2,0,0,0:vw4:vaw:2); (2,1,0,0:vw4:vaw:2); (2,2,0,0:vw4:vaw:2); (2,3,0,0:vw4:vaw:2) */
/******************************************/

/* calc coords, apply mask, and issue loads (if necessary) */
/* (d1,vc1,d0,vc0)=(1,3,2,0) */
s_mov_b32 s58, 128                                 // coordOffset0 d0=2 vc0=0
_v_add_co_u32 v132, vcc, v128, s58                 // coord0.2: coord0 += d0*sg0*VW + vc0
_v_add_lshl_u32 v134, v131, v132, 0x1              // scaleToBpe: accumulate d0 lower and *= bpe into Cin addr
_buffer_load_b64 v[138:139], v134, s[sgprSrdD:sgprSrdD+3], 0, offen offset:0 // load D (atomic) bpm=8 vaw=2
/* (d1,vc1,d0,vc0)=(1,3,3,0) */
s_mov_b32 s58, 192                                 // coordOffset0 d0=3 vc0=0
_v_add_co_u32 v132, vcc, v128, s58                 // coord0.2: coord0 += d0*sg0*VW + vc0
_v_add_lshl_u32 v135, v131, v132, 0x1              // scaleToBpe: accumulate d0 lower and *= bpe into Cin addr
_buffer_load_b64 v[142:143], v135, s[sgprSrdD:sgprSrdD+3], 0, offen offset:0 // load D (atomic) bpm=8 vaw=2
/* (d1,vc1,d0,vc0)=(2,0,0,0) */

/* Fix for UseInitialStridesCD, emitAddressSetupCode */
s_mul_i32 s58, s[sgprStrideC1J], 61                // scale stride
_v_add_u32 v130, v130, s58                         // ROWINC- Move cinRowPtr to next row
s_mul_i32 s58, s[sgprStrideD1J], 61                // scale stride
_v_add_u32 v131, v131, s58                         // Move coutRowPtr to next row
_v_add_lshl_u32 v144, v131, v128, 0x1              // scaleToBpe: accumulate d0 lower and *= bpe into Cin addr
_buffer_load_b64 v[150:151], v144, s[sgprSrdD:sgprSrdD+3], 0, offen offset:0 // load D (atomic) bpm=8 vaw=2
/* (d1,vc1,d0,vc0)=(2,0,1,0) */
_v_add_co_u32 v132, vcc, v128, 64                  // coord0.1: coord0 += d0*sg0*VW + vc0
_v_add_lshl_u32 v145, v131, v132, 0x1              // scaleToBpe: accumulate d0 lower and *= bpe into Cin addr
_buffer_load_b64 v[154:155], v145, s[sgprSrdD:sgprSrdD+3], 0, offen offset:0 // load D (atomic) bpm=8 vaw=2
/* (d1,vc1,d0,vc0)=(2,0,2,0) */
s_mov_b32 s58, 128                                 // coordOffset0 d0=2 vc0=0
_v_add_co_u32 v132, vcc, v128, s58                 // coord0.2: coord0 += d0*sg0*VW + vc0
_v_add_lshl_u32 v146, v131, v132, 0x1              // scaleToBpe: accumulate d0 lower and *= bpe into Cin addr
_buffer_load_b64 v[158:159], v146, s[sgprSrdD:sgprSrdD+3], 0, offen offset:0 // load D (atomic) bpm=8 vaw=2
/* (d1,vc1,d0,vc0)=(2,0,3,0) */
s_mov_b32 s58, 192                                 // coordOffset0 d0=3 vc0=0
_v_add_co_u32 v132, vcc, v128, s58                 // coord0.2: coord0 += d0*sg0*VW + vc0
_v_add_lshl_u32 v147, v131, v132, 0x1              // scaleToBpe: accumulate d0 lower and *= bpe into Cin addr
_buffer_load_b64 v[162:163], v147, s[sgprSrdD:sgprSrdD+3], 0, offen offset:0 // load D (atomic) bpm=8 vaw=2

/* rC *= alpha batchElements=[(1, 2, 3, 0), (1, 3, 3, 0), (2, 0, 0, 0), (2, 1, 0, 0), (2, 2, 0, 0), (2, 3, 0, 0)] */
v_pk_mul_f16 v[vgprValuC+60], s[sgprAlpha], v[vgprValuC+60] // *= alpha sumIdx=120 vi=1
v_pk_mul_f16 v[vgprValuC+61], s[sgprAlpha], v[vgprValuC+61] // *= alpha sumIdx=120 vi=3
	;; [unrolled: 1-line block ×12, first 2 shown]
s_waitcnt vmcnt(0)                                 // wait C (atomic)

/* issue first atomic writes */
v_mov_b32 v137, v138                               // v_mov for reordering loaded data
v_pk_add_f16 v136, v137, v[vgprValuC+60]           // desired value
_buffer_atomic_cmpswap_b32 v[136:137], v134, s[sgprSrdD:sgprSrdD+3] 0 offen offset:0 glc   // attempt write
v_pk_add_f16 v138, v139, v[vgprValuC+61]           // desired value
_buffer_atomic_cmpswap_b32 v[138:139], v134, s[sgprSrdD:sgprSrdD+3] 0 offen offset:4 glc   // attempt write
v_mov_b32 v141, v142                               // v_mov for reordering loaded data
v_pk_add_f16 v140, v141, v[vgprValuC+62]           // desired value
_buffer_atomic_cmpswap_b32 v[140:141], v135, s[sgprSrdD:sgprSrdD+3] 0 offen offset:0 glc   // attempt write
v_pk_add_f16 v142, v143, v[vgprValuC+63]           // desired value
_buffer_atomic_cmpswap_b32 v[142:143], v135, s[sgprSrdD:sgprSrdD+3] 0 offen offset:4 glc   // attempt write
	;; [unrolled: 5-line block ×6, first 2 shown]
s_waitcnt vmcnt(0)                                 // wait for atomic writes

/* check success of writes, update masks */
v_cmp_ne_u32 s[62:63], v136, v137                  // c read during atomic != c read during prior load
v_cmp_ne_u32 s[64:65], v138, v139                  // c read during atomic != c read during prior load
	;; [unrolled: 1-line block ×12, first 2 shown]

/* or masks to check for exit */
s_mov_b64 s[58:59], 0x0                            // empty mask
s_or_b64 s[58:59], s[62:63], s[58:59]              // or to add threads
s_or_b64 s[58:59], s[64:65], s[58:59]              // or to add threads
	;; [unrolled: 1-line block ×12, first 2 shown]
s_or_saveexec_b64 s[60:61], s[58:59]               // apply combined mask
s_cbranch_execz label_0038                         // if exec is zero skip loop

/* atomic CAS loop */
label_0037:

/* apply updated masks and issue writes again */
s_mov_b64 exec, s[62:63]                           // must try again
v_mov_b32 v137, v136                               // dataV+1 = tmp (new original C)
v_pk_add_f16 v136, v137, v[vgprValuC+60]           // newC = rC + originalC
_buffer_atomic_cmpswap_b32 v[136:137], v134, s[sgprSrdD:sgprSrdD+3] 0 offen offset:0 glc   // attempt write
s_mov_b64 exec, s[64:65]                           // must try again
v_mov_b32 v139, v138                               // dataV+1 = tmp (new original C)
v_pk_add_f16 v138, v139, v[vgprValuC+61]           // newC = rC + originalC
_buffer_atomic_cmpswap_b32 v[138:139], v134, s[sgprSrdD:sgprSrdD+3] 0 offen offset:4 glc   // attempt write
	;; [unrolled: 4-line block ×12, first 2 shown]
s_waitcnt vmcnt(0)                                 // wait for atomic writes

/* apply masks and check for success */
s_mov_b64 exec, s[62:63]                           // must try again
v_cmp_ne_u32 s[58:59], v136, v137                  // c read during atomic != c read during prior load
s_and_b64 s[62:63], s[58:59], s[62:63]             // inBounds & must try again
s_mov_b64 exec, s[64:65]                           // must try again
v_cmp_ne_u32 s[58:59], v138, v139                  // c read during atomic != c read during prior load
s_and_b64 s[64:65], s[58:59], s[64:65]             // inBounds & must try again
	;; [unrolled: 3-line block ×12, first 2 shown]

/* or masks to check for exit */
s_mov_b64 s[58:59], 0x0                            // empty mask
s_or_b64 s[58:59], s[62:63], s[58:59]              // or to add threads
s_or_b64 s[58:59], s[64:65], s[58:59]              // or to add threads
	;; [unrolled: 1-line block ×12, first 2 shown]
s_or_saveexec_b64 s[60:61], s[58:59]               // apply combined mask
s_cbranch_execnz label_0037                        // try again if not complete
label_0038:
s_mov_b64 exec, -1                                 // full mask -> exec
/* optSingleColVgpr=0 optSharedColVgpr=0 optSGPRUsage=None optSrdIncForRow=0 */

/******************************************/
/* Global Write Alpha Batch #6 (d1,d0,vc1,vc0) = */
/*    (2,0,1,0:vw4:vaw:2); (2,1,1,0:vw4:vaw:2); (2,2,1,0:vw4:vaw:2); (2,3,1,0:vw4:vaw:2); (2,0,2,0:vw4:vaw:2); (2,1,2,0:vw4:vaw:2) */
/******************************************/

/* calc coords, apply mask, and issue loads (if necessary) */
/* (d1,vc1,d0,vc0)=(2,1,0,0) */

/* Fix for UseInitialStridesCD, emitAddressSetupCode */
_v_add_u32 v130, v130, s[sgprStrideC1J]            // ROWINC- Move cinRowPtr to next row
_v_add_u32 v131, v131, s[sgprStrideD1J]            // Move coutRowPtr to next row
_v_add_lshl_u32 v134, v131, v128, 0x1              // scaleToBpe: accumulate d0 lower and *= bpe into Cin addr
_buffer_load_b64 v[138:139], v134, s[sgprSrdD:sgprSrdD+3], 0, offen offset:0 // load D (atomic) bpm=8 vaw=2
/* (d1,vc1,d0,vc0)=(2,1,1,0) */
_v_add_co_u32 v132, vcc, v128, 64                  // coord0.1: coord0 += d0*sg0*VW + vc0
_v_add_lshl_u32 v135, v131, v132, 0x1              // scaleToBpe: accumulate d0 lower and *= bpe into Cin addr
_buffer_load_b64 v[142:143], v135, s[sgprSrdD:sgprSrdD+3], 0, offen offset:0 // load D (atomic) bpm=8 vaw=2
/* (d1,vc1,d0,vc0)=(2,1,2,0) */
s_mov_b32 s58, 128                                 // coordOffset0 d0=2 vc0=0
_v_add_co_u32 v132, vcc, v128, s58                 // coord0.2: coord0 += d0*sg0*VW + vc0
_v_add_lshl_u32 v144, v131, v132, 0x1              // scaleToBpe: accumulate d0 lower and *= bpe into Cin addr
_buffer_load_b64 v[150:151], v144, s[sgprSrdD:sgprSrdD+3], 0, offen offset:0 // load D (atomic) bpm=8 vaw=2
/* (d1,vc1,d0,vc0)=(2,1,3,0) */
s_mov_b32 s58, 192                                 // coordOffset0 d0=3 vc0=0
_v_add_co_u32 v132, vcc, v128, s58                 // coord0.2: coord0 += d0*sg0*VW + vc0
_v_add_lshl_u32 v145, v131, v132, 0x1              // scaleToBpe: accumulate d0 lower and *= bpe into Cin addr
_buffer_load_b64 v[154:155], v145, s[sgprSrdD:sgprSrdD+3], 0, offen offset:0 // load D (atomic) bpm=8 vaw=2
/* (d1,vc1,d0,vc0)=(2,2,0,0) */

/* Fix for UseInitialStridesCD, emitAddressSetupCode */
_v_add_u32 v130, v130, s[sgprStrideC1J]            // ROWINC- Move cinRowPtr to next row
_v_add_u32 v131, v131, s[sgprStrideD1J]            // Move coutRowPtr to next row
_v_add_lshl_u32 v146, v131, v128, 0x1              // scaleToBpe: accumulate d0 lower and *= bpe into Cin addr
_buffer_load_b64 v[158:159], v146, s[sgprSrdD:sgprSrdD+3], 0, offen offset:0 // load D (atomic) bpm=8 vaw=2
/* (d1,vc1,d0,vc0)=(2,2,1,0) */
_v_add_co_u32 v132, vcc, v128, 64                  // coord0.1: coord0 += d0*sg0*VW + vc0
_v_add_lshl_u32 v147, v131, v132, 0x1              // scaleToBpe: accumulate d0 lower and *= bpe into Cin addr
_buffer_load_b64 v[162:163], v147, s[sgprSrdD:sgprSrdD+3], 0, offen offset:0 // load D (atomic) bpm=8 vaw=2

/* rC *= alpha batchElements=[(2, 0, 1, 0), (2, 1, 1, 0), (2, 2, 1, 0), (2, 3, 1, 0), (2, 0, 2, 0), (2, 1, 2, 0)] */
v_pk_mul_f16 v[vgprValuC+72], s[sgprAlpha], v[vgprValuC+72] // *= alpha sumIdx=144 vi=1
v_pk_mul_f16 v[vgprValuC+73], s[sgprAlpha], v[vgprValuC+73] // *= alpha sumIdx=144 vi=3
	;; [unrolled: 1-line block ×12, first 2 shown]
s_waitcnt vmcnt(0)                                 // wait C (atomic)

/* issue first atomic writes */
v_mov_b32 v137, v138                               // v_mov for reordering loaded data
v_pk_add_f16 v136, v137, v[vgprValuC+72]           // desired value
_buffer_atomic_cmpswap_b32 v[136:137], v134, s[sgprSrdD:sgprSrdD+3] 0 offen offset:0 glc   // attempt write
v_pk_add_f16 v138, v139, v[vgprValuC+73]           // desired value
_buffer_atomic_cmpswap_b32 v[138:139], v134, s[sgprSrdD:sgprSrdD+3] 0 offen offset:4 glc   // attempt write
v_mov_b32 v141, v142                               // v_mov for reordering loaded data
v_pk_add_f16 v140, v141, v[vgprValuC+74]           // desired value
_buffer_atomic_cmpswap_b32 v[140:141], v135, s[sgprSrdD:sgprSrdD+3] 0 offen offset:0 glc   // attempt write
v_pk_add_f16 v142, v143, v[vgprValuC+75]           // desired value
_buffer_atomic_cmpswap_b32 v[142:143], v135, s[sgprSrdD:sgprSrdD+3] 0 offen offset:4 glc   // attempt write
	;; [unrolled: 5-line block ×6, first 2 shown]
s_waitcnt vmcnt(0)                                 // wait for atomic writes

/* check success of writes, update masks */
v_cmp_ne_u32 s[62:63], v136, v137                  // c read during atomic != c read during prior load
v_cmp_ne_u32 s[64:65], v138, v139                  // c read during atomic != c read during prior load
	;; [unrolled: 1-line block ×12, first 2 shown]

/* or masks to check for exit */
s_mov_b64 s[58:59], 0x0                            // empty mask
s_or_b64 s[58:59], s[62:63], s[58:59]              // or to add threads
s_or_b64 s[58:59], s[64:65], s[58:59]              // or to add threads
	;; [unrolled: 1-line block ×12, first 2 shown]
s_or_saveexec_b64 s[60:61], s[58:59]               // apply combined mask
s_cbranch_execz label_0040                         // if exec is zero skip loop

/* atomic CAS loop */
label_0039:

/* apply updated masks and issue writes again */
s_mov_b64 exec, s[62:63]                           // must try again
v_mov_b32 v137, v136                               // dataV+1 = tmp (new original C)
v_pk_add_f16 v136, v137, v[vgprValuC+72]           // newC = rC + originalC
_buffer_atomic_cmpswap_b32 v[136:137], v134, s[sgprSrdD:sgprSrdD+3] 0 offen offset:0 glc   // attempt write
s_mov_b64 exec, s[64:65]                           // must try again
v_mov_b32 v139, v138                               // dataV+1 = tmp (new original C)
v_pk_add_f16 v138, v139, v[vgprValuC+73]           // newC = rC + originalC
_buffer_atomic_cmpswap_b32 v[138:139], v134, s[sgprSrdD:sgprSrdD+3] 0 offen offset:4 glc   // attempt write
	;; [unrolled: 4-line block ×12, first 2 shown]
s_waitcnt vmcnt(0)                                 // wait for atomic writes

/* apply masks and check for success */
s_mov_b64 exec, s[62:63]                           // must try again
v_cmp_ne_u32 s[58:59], v136, v137                  // c read during atomic != c read during prior load
s_and_b64 s[62:63], s[58:59], s[62:63]             // inBounds & must try again
s_mov_b64 exec, s[64:65]                           // must try again
v_cmp_ne_u32 s[58:59], v138, v139                  // c read during atomic != c read during prior load
s_and_b64 s[64:65], s[58:59], s[64:65]             // inBounds & must try again
	;; [unrolled: 3-line block ×12, first 2 shown]

/* or masks to check for exit */
s_mov_b64 s[58:59], 0x0                            // empty mask
s_or_b64 s[58:59], s[62:63], s[58:59]              // or to add threads
s_or_b64 s[58:59], s[64:65], s[58:59]              // or to add threads
	;; [unrolled: 1-line block ×12, first 2 shown]
s_or_saveexec_b64 s[60:61], s[58:59]               // apply combined mask
s_cbranch_execnz label_0039                        // try again if not complete
label_0040:
s_mov_b64 exec, -1                                 // full mask -> exec
/* optSingleColVgpr=0 optSharedColVgpr=0 optSGPRUsage=None optSrdIncForRow=0 */

/******************************************/
/* Global Write Alpha Batch #7 (d1,d0,vc1,vc0) = */
/*    (2,2,2,0:vw4:vaw:2); (2,3,2,0:vw4:vaw:2); (2,0,3,0:vw4:vaw:2); (2,1,3,0:vw4:vaw:2); (2,2,3,0:vw4:vaw:2); (2,3,3,0:vw4:vaw:2) */
/******************************************/

/* calc coords, apply mask, and issue loads (if necessary) */
/* (d1,vc1,d0,vc0)=(2,2,2,0) */
s_mov_b32 s58, 128                                 // coordOffset0 d0=2 vc0=0
_v_add_co_u32 v132, vcc, v128, s58                 // coord0.2: coord0 += d0*sg0*VW + vc0
_v_add_lshl_u32 v134, v131, v132, 0x1              // scaleToBpe: accumulate d0 lower and *= bpe into Cin addr
_buffer_load_b64 v[138:139], v134, s[sgprSrdD:sgprSrdD+3], 0, offen offset:0 // load D (atomic) bpm=8 vaw=2
/* (d1,vc1,d0,vc0)=(2,2,3,0) */
s_mov_b32 s58, 192                                 // coordOffset0 d0=3 vc0=0
_v_add_co_u32 v132, vcc, v128, s58                 // coord0.2: coord0 += d0*sg0*VW + vc0
_v_add_lshl_u32 v135, v131, v132, 0x1              // scaleToBpe: accumulate d0 lower and *= bpe into Cin addr
_buffer_load_b64 v[142:143], v135, s[sgprSrdD:sgprSrdD+3], 0, offen offset:0 // load D (atomic) bpm=8 vaw=2
/* (d1,vc1,d0,vc0)=(2,3,0,0) */

/* Fix for UseInitialStridesCD, emitAddressSetupCode */
_v_add_u32 v130, v130, s[sgprStrideC1J]            // ROWINC- Move cinRowPtr to next row
_v_add_u32 v131, v131, s[sgprStrideD1J]            // Move coutRowPtr to next row
_v_add_lshl_u32 v144, v131, v128, 0x1              // scaleToBpe: accumulate d0 lower and *= bpe into Cin addr
_buffer_load_b64 v[150:151], v144, s[sgprSrdD:sgprSrdD+3], 0, offen offset:0 // load D (atomic) bpm=8 vaw=2
/* (d1,vc1,d0,vc0)=(2,3,1,0) */
_v_add_co_u32 v132, vcc, v128, 64                  // coord0.1: coord0 += d0*sg0*VW + vc0
_v_add_lshl_u32 v145, v131, v132, 0x1              // scaleToBpe: accumulate d0 lower and *= bpe into Cin addr
_buffer_load_b64 v[154:155], v145, s[sgprSrdD:sgprSrdD+3], 0, offen offset:0 // load D (atomic) bpm=8 vaw=2
/* (d1,vc1,d0,vc0)=(2,3,2,0) */
s_mov_b32 s58, 128                                 // coordOffset0 d0=2 vc0=0
_v_add_co_u32 v132, vcc, v128, s58                 // coord0.2: coord0 += d0*sg0*VW + vc0
_v_add_lshl_u32 v146, v131, v132, 0x1              // scaleToBpe: accumulate d0 lower and *= bpe into Cin addr
_buffer_load_b64 v[158:159], v146, s[sgprSrdD:sgprSrdD+3], 0, offen offset:0 // load D (atomic) bpm=8 vaw=2
/* (d1,vc1,d0,vc0)=(2,3,3,0) */
s_mov_b32 s58, 192                                 // coordOffset0 d0=3 vc0=0
_v_add_co_u32 v132, vcc, v128, s58                 // coord0.2: coord0 += d0*sg0*VW + vc0
_v_add_lshl_u32 v147, v131, v132, 0x1              // scaleToBpe: accumulate d0 lower and *= bpe into Cin addr
_buffer_load_b64 v[162:163], v147, s[sgprSrdD:sgprSrdD+3], 0, offen offset:0 // load D (atomic) bpm=8 vaw=2

/* rC *= alpha batchElements=[(2, 2, 2, 0), (2, 3, 2, 0), (2, 0, 3, 0), (2, 1, 3, 0), (2, 2, 3, 0), (2, 3, 3, 0)] */
v_pk_mul_f16 v[vgprValuC+84], s[sgprAlpha], v[vgprValuC+84] // *= alpha sumIdx=168 vi=1
v_pk_mul_f16 v[vgprValuC+85], s[sgprAlpha], v[vgprValuC+85] // *= alpha sumIdx=168 vi=3
v_pk_mul_f16 v[vgprValuC+86], s[sgprAlpha], v[vgprValuC+86] // *= alpha sumIdx=172 vi=1
v_pk_mul_f16 v[vgprValuC+87], s[sgprAlpha], v[vgprValuC+87] // *= alpha sumIdx=172 vi=3
v_pk_mul_f16 v[vgprValuC+88], s[sgprAlpha], v[vgprValuC+88] // *= alpha sumIdx=176 vi=1
v_pk_mul_f16 v[vgprValuC+89], s[sgprAlpha], v[vgprValuC+89] // *= alpha sumIdx=176 vi=3
v_pk_mul_f16 v[vgprValuC+90], s[sgprAlpha], v[vgprValuC+90] // *= alpha sumIdx=180 vi=1
v_pk_mul_f16 v[vgprValuC+91], s[sgprAlpha], v[vgprValuC+91] // *= alpha sumIdx=180 vi=3
v_pk_mul_f16 v[vgprValuC+92], s[sgprAlpha], v[vgprValuC+92] // *= alpha sumIdx=184 vi=1
v_pk_mul_f16 v[vgprValuC+93], s[sgprAlpha], v[vgprValuC+93] // *= alpha sumIdx=184 vi=3
v_pk_mul_f16 v[vgprValuC+94], s[sgprAlpha], v[vgprValuC+94] // *= alpha sumIdx=188 vi=1
v_pk_mul_f16 v[vgprValuC+95], s[sgprAlpha], v[vgprValuC+95] // *= alpha sumIdx=188 vi=3
s_waitcnt vmcnt(0)                                 // wait C (atomic)

/* issue first atomic writes */
v_mov_b32 v137, v138                               // v_mov for reordering loaded data
v_pk_add_f16 v136, v137, v[vgprValuC+84]           // desired value
_buffer_atomic_cmpswap_b32 v[136:137], v134, s[sgprSrdD:sgprSrdD+3] 0 offen offset:0 glc   // attempt write
v_pk_add_f16 v138, v139, v[vgprValuC+85]           // desired value
_buffer_atomic_cmpswap_b32 v[138:139], v134, s[sgprSrdD:sgprSrdD+3] 0 offen offset:4 glc   // attempt write
v_mov_b32 v141, v142                               // v_mov for reordering loaded data
v_pk_add_f16 v140, v141, v[vgprValuC+86]           // desired value
_buffer_atomic_cmpswap_b32 v[140:141], v135, s[sgprSrdD:sgprSrdD+3] 0 offen offset:0 glc   // attempt write
v_pk_add_f16 v142, v143, v[vgprValuC+87]           // desired value
_buffer_atomic_cmpswap_b32 v[142:143], v135, s[sgprSrdD:sgprSrdD+3] 0 offen offset:4 glc   // attempt write
	;; [unrolled: 5-line block ×6, first 2 shown]
s_waitcnt vmcnt(0)                                 // wait for atomic writes

/* check success of writes, update masks */
v_cmp_ne_u32 s[62:63], v136, v137                  // c read during atomic != c read during prior load
v_cmp_ne_u32 s[64:65], v138, v139                  // c read during atomic != c read during prior load
	;; [unrolled: 1-line block ×12, first 2 shown]

/* or masks to check for exit */
s_mov_b64 s[58:59], 0x0                            // empty mask
s_or_b64 s[58:59], s[62:63], s[58:59]              // or to add threads
s_or_b64 s[58:59], s[64:65], s[58:59]              // or to add threads
	;; [unrolled: 1-line block ×12, first 2 shown]
s_or_saveexec_b64 s[60:61], s[58:59]               // apply combined mask
s_cbranch_execz label_0042                         // if exec is zero skip loop

/* atomic CAS loop */
label_0041:

/* apply updated masks and issue writes again */
s_mov_b64 exec, s[62:63]                           // must try again
v_mov_b32 v137, v136                               // dataV+1 = tmp (new original C)
v_pk_add_f16 v136, v137, v[vgprValuC+84]           // newC = rC + originalC
_buffer_atomic_cmpswap_b32 v[136:137], v134, s[sgprSrdD:sgprSrdD+3] 0 offen offset:0 glc   // attempt write
s_mov_b64 exec, s[64:65]                           // must try again
v_mov_b32 v139, v138                               // dataV+1 = tmp (new original C)
v_pk_add_f16 v138, v139, v[vgprValuC+85]           // newC = rC + originalC
_buffer_atomic_cmpswap_b32 v[138:139], v134, s[sgprSrdD:sgprSrdD+3] 0 offen offset:4 glc   // attempt write
	;; [unrolled: 4-line block ×12, first 2 shown]
s_waitcnt vmcnt(0)                                 // wait for atomic writes

/* apply masks and check for success */
s_mov_b64 exec, s[62:63]                           // must try again
v_cmp_ne_u32 s[58:59], v136, v137                  // c read during atomic != c read during prior load
s_and_b64 s[62:63], s[58:59], s[62:63]             // inBounds & must try again
s_mov_b64 exec, s[64:65]                           // must try again
v_cmp_ne_u32 s[58:59], v138, v139                  // c read during atomic != c read during prior load
s_and_b64 s[64:65], s[58:59], s[64:65]             // inBounds & must try again
	;; [unrolled: 3-line block ×12, first 2 shown]

/* or masks to check for exit */
s_mov_b64 s[58:59], 0x0                            // empty mask
s_or_b64 s[58:59], s[62:63], s[58:59]              // or to add threads
s_or_b64 s[58:59], s[64:65], s[58:59]              // or to add threads
	;; [unrolled: 1-line block ×12, first 2 shown]
s_or_saveexec_b64 s[60:61], s[58:59]               // apply combined mask
s_cbranch_execnz label_0041                        // try again if not complete
label_0042:
s_mov_b64 exec, -1                                 // full mask -> exec
/* optSingleColVgpr=0 optSharedColVgpr=0 optSGPRUsage=None optSrdIncForRow=0 */

/******************************************/
/* Global Write Alpha Batch #8 (d1,d0,vc1,vc0) = */
/*    (3,0,0,0:vw4:vaw:2); (3,1,0,0:vw4:vaw:2); (3,2,0,0:vw4:vaw:2); (3,3,0,0:vw4:vaw:2); (3,0,1,0:vw4:vaw:2); (3,1,1,0:vw4:vaw:2) */
/******************************************/

/* calc coords, apply mask, and issue loads (if necessary) */
/* (d1,vc1,d0,vc0)=(3,0,0,0) */

/* Fix for UseInitialStridesCD, emitAddressSetupCode */
s_mul_i32 s58, s[sgprStrideC1J], 61                // scale stride
_v_add_u32 v130, v130, s58                         // ROWINC- Move cinRowPtr to next row
s_mul_i32 s58, s[sgprStrideD1J], 61                // scale stride
_v_add_u32 v131, v131, s58                         // Move coutRowPtr to next row
_v_add_lshl_u32 v134, v131, v128, 0x1              // scaleToBpe: accumulate d0 lower and *= bpe into Cin addr
_buffer_load_b64 v[138:139], v134, s[sgprSrdD:sgprSrdD+3], 0, offen offset:0 // load D (atomic) bpm=8 vaw=2
/* (d1,vc1,d0,vc0)=(3,0,1,0) */
_v_add_co_u32 v132, vcc, v128, 64                  // coord0.1: coord0 += d0*sg0*VW + vc0
_v_add_lshl_u32 v135, v131, v132, 0x1              // scaleToBpe: accumulate d0 lower and *= bpe into Cin addr
_buffer_load_b64 v[142:143], v135, s[sgprSrdD:sgprSrdD+3], 0, offen offset:0 // load D (atomic) bpm=8 vaw=2
/* (d1,vc1,d0,vc0)=(3,0,2,0) */
s_mov_b32 s58, 128                                 // coordOffset0 d0=2 vc0=0
_v_add_co_u32 v132, vcc, v128, s58                 // coord0.2: coord0 += d0*sg0*VW + vc0
_v_add_lshl_u32 v144, v131, v132, 0x1              // scaleToBpe: accumulate d0 lower and *= bpe into Cin addr
_buffer_load_b64 v[150:151], v144, s[sgprSrdD:sgprSrdD+3], 0, offen offset:0 // load D (atomic) bpm=8 vaw=2
/* (d1,vc1,d0,vc0)=(3,0,3,0) */
s_mov_b32 s58, 192                                 // coordOffset0 d0=3 vc0=0
_v_add_co_u32 v132, vcc, v128, s58                 // coord0.2: coord0 += d0*sg0*VW + vc0
_v_add_lshl_u32 v145, v131, v132, 0x1              // scaleToBpe: accumulate d0 lower and *= bpe into Cin addr
_buffer_load_b64 v[154:155], v145, s[sgprSrdD:sgprSrdD+3], 0, offen offset:0 // load D (atomic) bpm=8 vaw=2
/* (d1,vc1,d0,vc0)=(3,1,0,0) */

/* Fix for UseInitialStridesCD, emitAddressSetupCode */
_v_add_u32 v130, v130, s[sgprStrideC1J]            // ROWINC- Move cinRowPtr to next row
_v_add_u32 v131, v131, s[sgprStrideD1J]            // Move coutRowPtr to next row
_v_add_lshl_u32 v146, v131, v128, 0x1              // scaleToBpe: accumulate d0 lower and *= bpe into Cin addr
_buffer_load_b64 v[158:159], v146, s[sgprSrdD:sgprSrdD+3], 0, offen offset:0 // load D (atomic) bpm=8 vaw=2
/* (d1,vc1,d0,vc0)=(3,1,1,0) */
_v_add_co_u32 v132, vcc, v128, 64                  // coord0.1: coord0 += d0*sg0*VW + vc0
_v_add_lshl_u32 v147, v131, v132, 0x1              // scaleToBpe: accumulate d0 lower and *= bpe into Cin addr
_buffer_load_b64 v[162:163], v147, s[sgprSrdD:sgprSrdD+3], 0, offen offset:0 // load D (atomic) bpm=8 vaw=2

/* rC *= alpha batchElements=[(3, 0, 0, 0), (3, 1, 0, 0), (3, 2, 0, 0), (3, 3, 0, 0), (3, 0, 1, 0), (3, 1, 1, 0)] */
v_pk_mul_f16 v[vgprValuC+96], s[sgprAlpha], v[vgprValuC+96] // *= alpha sumIdx=192 vi=1
v_pk_mul_f16 v[vgprValuC+97], s[sgprAlpha], v[vgprValuC+97] // *= alpha sumIdx=192 vi=3
	;; [unrolled: 1-line block ×12, first 2 shown]
s_waitcnt vmcnt(0)                                 // wait C (atomic)

/* issue first atomic writes */
v_mov_b32 v137, v138                               // v_mov for reordering loaded data
v_pk_add_f16 v136, v137, v[vgprValuC+96]           // desired value
_buffer_atomic_cmpswap_b32 v[136:137], v134, s[sgprSrdD:sgprSrdD+3] 0 offen offset:0 glc   // attempt write
v_pk_add_f16 v138, v139, v[vgprValuC+97]           // desired value
_buffer_atomic_cmpswap_b32 v[138:139], v134, s[sgprSrdD:sgprSrdD+3] 0 offen offset:4 glc   // attempt write
v_mov_b32 v141, v142                               // v_mov for reordering loaded data
v_pk_add_f16 v140, v141, v[vgprValuC+98]           // desired value
_buffer_atomic_cmpswap_b32 v[140:141], v135, s[sgprSrdD:sgprSrdD+3] 0 offen offset:0 glc   // attempt write
v_pk_add_f16 v142, v143, v[vgprValuC+99]           // desired value
_buffer_atomic_cmpswap_b32 v[142:143], v135, s[sgprSrdD:sgprSrdD+3] 0 offen offset:4 glc   // attempt write
v_mov_b32 v149, v150                               // v_mov for reordering loaded data
v_pk_add_f16 v148, v149, v[vgprValuC+100]          // desired value
_buffer_atomic_cmpswap_b32 v[148:149], v144, s[sgprSrdD:sgprSrdD+3] 0 offen offset:0 glc   // attempt write
v_pk_add_f16 v150, v151, v[vgprValuC+101]          // desired value
_buffer_atomic_cmpswap_b32 v[150:151], v144, s[sgprSrdD:sgprSrdD+3] 0 offen offset:4 glc   // attempt write
v_mov_b32 v153, v154                               // v_mov for reordering loaded data
v_pk_add_f16 v152, v153, v[vgprValuC+102]          // desired value
_buffer_atomic_cmpswap_b32 v[152:153], v145, s[sgprSrdD:sgprSrdD+3] 0 offen offset:0 glc   // attempt write
v_pk_add_f16 v154, v155, v[vgprValuC+103]          // desired value
	;; [unrolled: 5-line block ×4, first 2 shown]
_buffer_atomic_cmpswap_b32 v[162:163], v147, s[sgprSrdD:sgprSrdD+3] 0 offen offset:4 glc   // attempt write
s_waitcnt vmcnt(0)                                 // wait for atomic writes

/* check success of writes, update masks */
v_cmp_ne_u32 s[62:63], v136, v137                  // c read during atomic != c read during prior load
v_cmp_ne_u32 s[64:65], v138, v139                  // c read during atomic != c read during prior load
	;; [unrolled: 1-line block ×12, first 2 shown]

/* or masks to check for exit */
s_mov_b64 s[58:59], 0x0                            // empty mask
s_or_b64 s[58:59], s[62:63], s[58:59]              // or to add threads
s_or_b64 s[58:59], s[64:65], s[58:59]              // or to add threads
	;; [unrolled: 1-line block ×12, first 2 shown]
s_or_saveexec_b64 s[60:61], s[58:59]               // apply combined mask
s_cbranch_execz label_0044                         // if exec is zero skip loop

/* atomic CAS loop */
label_0043:

/* apply updated masks and issue writes again */
s_mov_b64 exec, s[62:63]                           // must try again
v_mov_b32 v137, v136                               // dataV+1 = tmp (new original C)
v_pk_add_f16 v136, v137, v[vgprValuC+96]           // newC = rC + originalC
_buffer_atomic_cmpswap_b32 v[136:137], v134, s[sgprSrdD:sgprSrdD+3] 0 offen offset:0 glc   // attempt write
s_mov_b64 exec, s[64:65]                           // must try again
v_mov_b32 v139, v138                               // dataV+1 = tmp (new original C)
v_pk_add_f16 v138, v139, v[vgprValuC+97]           // newC = rC + originalC
_buffer_atomic_cmpswap_b32 v[138:139], v134, s[sgprSrdD:sgprSrdD+3] 0 offen offset:4 glc   // attempt write
	;; [unrolled: 4-line block ×4, first 2 shown]
s_mov_b64 exec, s[70:71]                           // must try again
v_mov_b32 v149, v148                               // dataV+1 = tmp (new original C)
v_pk_add_f16 v148, v149, v[vgprValuC+100]          // newC = rC + originalC
_buffer_atomic_cmpswap_b32 v[148:149], v144, s[sgprSrdD:sgprSrdD+3] 0 offen offset:0 glc   // attempt write
s_mov_b64 exec, s[72:73]                           // must try again
v_mov_b32 v151, v150                               // dataV+1 = tmp (new original C)
v_pk_add_f16 v150, v151, v[vgprValuC+101]          // newC = rC + originalC
_buffer_atomic_cmpswap_b32 v[150:151], v144, s[sgprSrdD:sgprSrdD+3] 0 offen offset:4 glc   // attempt write
	;; [unrolled: 4-line block ×8, first 2 shown]
s_waitcnt vmcnt(0)                                 // wait for atomic writes

/* apply masks and check for success */
s_mov_b64 exec, s[62:63]                           // must try again
v_cmp_ne_u32 s[58:59], v136, v137                  // c read during atomic != c read during prior load
s_and_b64 s[62:63], s[58:59], s[62:63]             // inBounds & must try again
s_mov_b64 exec, s[64:65]                           // must try again
v_cmp_ne_u32 s[58:59], v138, v139                  // c read during atomic != c read during prior load
s_and_b64 s[64:65], s[58:59], s[64:65]             // inBounds & must try again
	;; [unrolled: 3-line block ×12, first 2 shown]

/* or masks to check for exit */
s_mov_b64 s[58:59], 0x0                            // empty mask
s_or_b64 s[58:59], s[62:63], s[58:59]              // or to add threads
s_or_b64 s[58:59], s[64:65], s[58:59]              // or to add threads
	;; [unrolled: 1-line block ×12, first 2 shown]
s_or_saveexec_b64 s[60:61], s[58:59]               // apply combined mask
s_cbranch_execnz label_0043                        // try again if not complete
label_0044:
s_mov_b64 exec, -1                                 // full mask -> exec
/* optSingleColVgpr=0 optSharedColVgpr=0 optSGPRUsage=None optSrdIncForRow=0 */

/******************************************/
/* Global Write Alpha Batch #9 (d1,d0,vc1,vc0) = */
/*    (3,2,1,0:vw4:vaw:2); (3,3,1,0:vw4:vaw:2); (3,0,2,0:vw4:vaw:2); (3,1,2,0:vw4:vaw:2); (3,2,2,0:vw4:vaw:2); (3,3,2,0:vw4:vaw:2) */
/******************************************/

/* calc coords, apply mask, and issue loads (if necessary) */
/* (d1,vc1,d0,vc0)=(3,1,2,0) */
s_mov_b32 s58, 128                                 // coordOffset0 d0=2 vc0=0
_v_add_co_u32 v132, vcc, v128, s58                 // coord0.2: coord0 += d0*sg0*VW + vc0
_v_add_lshl_u32 v134, v131, v132, 0x1              // scaleToBpe: accumulate d0 lower and *= bpe into Cin addr
_buffer_load_b64 v[138:139], v134, s[sgprSrdD:sgprSrdD+3], 0, offen offset:0 // load D (atomic) bpm=8 vaw=2
/* (d1,vc1,d0,vc0)=(3,1,3,0) */
s_mov_b32 s58, 192                                 // coordOffset0 d0=3 vc0=0
_v_add_co_u32 v132, vcc, v128, s58                 // coord0.2: coord0 += d0*sg0*VW + vc0
_v_add_lshl_u32 v135, v131, v132, 0x1              // scaleToBpe: accumulate d0 lower and *= bpe into Cin addr
_buffer_load_b64 v[142:143], v135, s[sgprSrdD:sgprSrdD+3], 0, offen offset:0 // load D (atomic) bpm=8 vaw=2
/* (d1,vc1,d0,vc0)=(3,2,0,0) */

/* Fix for UseInitialStridesCD, emitAddressSetupCode */
_v_add_u32 v130, v130, s[sgprStrideC1J]            // ROWINC- Move cinRowPtr to next row
_v_add_u32 v131, v131, s[sgprStrideD1J]            // Move coutRowPtr to next row
_v_add_lshl_u32 v144, v131, v128, 0x1              // scaleToBpe: accumulate d0 lower and *= bpe into Cin addr
_buffer_load_b64 v[150:151], v144, s[sgprSrdD:sgprSrdD+3], 0, offen offset:0 // load D (atomic) bpm=8 vaw=2
/* (d1,vc1,d0,vc0)=(3,2,1,0) */
_v_add_co_u32 v132, vcc, v128, 64                  // coord0.1: coord0 += d0*sg0*VW + vc0
_v_add_lshl_u32 v145, v131, v132, 0x1              // scaleToBpe: accumulate d0 lower and *= bpe into Cin addr
_buffer_load_b64 v[154:155], v145, s[sgprSrdD:sgprSrdD+3], 0, offen offset:0 // load D (atomic) bpm=8 vaw=2
/* (d1,vc1,d0,vc0)=(3,2,2,0) */
s_mov_b32 s58, 128                                 // coordOffset0 d0=2 vc0=0
_v_add_co_u32 v132, vcc, v128, s58                 // coord0.2: coord0 += d0*sg0*VW + vc0
_v_add_lshl_u32 v146, v131, v132, 0x1              // scaleToBpe: accumulate d0 lower and *= bpe into Cin addr
_buffer_load_b64 v[158:159], v146, s[sgprSrdD:sgprSrdD+3], 0, offen offset:0 // load D (atomic) bpm=8 vaw=2
/* (d1,vc1,d0,vc0)=(3,2,3,0) */
s_mov_b32 s58, 192                                 // coordOffset0 d0=3 vc0=0
_v_add_co_u32 v132, vcc, v128, s58                 // coord0.2: coord0 += d0*sg0*VW + vc0
_v_add_lshl_u32 v147, v131, v132, 0x1              // scaleToBpe: accumulate d0 lower and *= bpe into Cin addr
_buffer_load_b64 v[162:163], v147, s[sgprSrdD:sgprSrdD+3], 0, offen offset:0 // load D (atomic) bpm=8 vaw=2

/* rC *= alpha batchElements=[(3, 2, 1, 0), (3, 3, 1, 0), (3, 0, 2, 0), (3, 1, 2, 0), (3, 2, 2, 0), (3, 3, 2, 0)] */
v_pk_mul_f16 v[vgprValuC+108], s[sgprAlpha], v[vgprValuC+108] // *= alpha sumIdx=216 vi=1
v_pk_mul_f16 v[vgprValuC+109], s[sgprAlpha], v[vgprValuC+109] // *= alpha sumIdx=216 vi=3
	;; [unrolled: 1-line block ×12, first 2 shown]
s_waitcnt vmcnt(0)                                 // wait C (atomic)

/* issue first atomic writes */
v_mov_b32 v137, v138                               // v_mov for reordering loaded data
v_pk_add_f16 v136, v137, v[vgprValuC+108]          // desired value
_buffer_atomic_cmpswap_b32 v[136:137], v134, s[sgprSrdD:sgprSrdD+3] 0 offen offset:0 glc   // attempt write
v_pk_add_f16 v138, v139, v[vgprValuC+109]          // desired value
_buffer_atomic_cmpswap_b32 v[138:139], v134, s[sgprSrdD:sgprSrdD+3] 0 offen offset:4 glc   // attempt write
v_mov_b32 v141, v142                               // v_mov for reordering loaded data
v_pk_add_f16 v140, v141, v[vgprValuC+110]          // desired value
_buffer_atomic_cmpswap_b32 v[140:141], v135, s[sgprSrdD:sgprSrdD+3] 0 offen offset:0 glc   // attempt write
v_pk_add_f16 v142, v143, v[vgprValuC+111]          // desired value
_buffer_atomic_cmpswap_b32 v[142:143], v135, s[sgprSrdD:sgprSrdD+3] 0 offen offset:4 glc   // attempt write
	;; [unrolled: 5-line block ×6, first 2 shown]
s_waitcnt vmcnt(0)                                 // wait for atomic writes

/* check success of writes, update masks */
v_cmp_ne_u32 s[62:63], v136, v137                  // c read during atomic != c read during prior load
v_cmp_ne_u32 s[64:65], v138, v139                  // c read during atomic != c read during prior load
	;; [unrolled: 1-line block ×12, first 2 shown]

/* or masks to check for exit */
s_mov_b64 s[58:59], 0x0                            // empty mask
s_or_b64 s[58:59], s[62:63], s[58:59]              // or to add threads
s_or_b64 s[58:59], s[64:65], s[58:59]              // or to add threads
s_or_b64 s[58:59], s[66:67], s[58:59]              // or to add threads
s_or_b64 s[58:59], s[68:69], s[58:59]              // or to add threads
s_or_b64 s[58:59], s[70:71], s[58:59]              // or to add threads
s_or_b64 s[58:59], s[72:73], s[58:59]              // or to add threads
s_or_b64 s[58:59], s[74:75], s[58:59]              // or to add threads
s_or_b64 s[58:59], s[76:77], s[58:59]              // or to add threads
s_or_b64 s[58:59], s[78:79], s[58:59]              // or to add threads
s_or_b64 s[58:59], s[80:81], s[58:59]              // or to add threads
s_or_b64 s[58:59], s[82:83], s[58:59]              // or to add threads
s_or_b64 s[58:59], s[84:85], s[58:59]              // or to add threads
s_or_saveexec_b64 s[60:61], s[58:59]               // apply combined mask
s_cbranch_execz label_0046                         // if exec is zero skip loop

/* atomic CAS loop */
label_0045:

/* apply updated masks and issue writes again */
s_mov_b64 exec, s[62:63]                           // must try again
v_mov_b32 v137, v136                               // dataV+1 = tmp (new original C)
v_pk_add_f16 v136, v137, v[vgprValuC+108]          // newC = rC + originalC
_buffer_atomic_cmpswap_b32 v[136:137], v134, s[sgprSrdD:sgprSrdD+3] 0 offen offset:0 glc   // attempt write
s_mov_b64 exec, s[64:65]                           // must try again
v_mov_b32 v139, v138                               // dataV+1 = tmp (new original C)
v_pk_add_f16 v138, v139, v[vgprValuC+109]          // newC = rC + originalC
_buffer_atomic_cmpswap_b32 v[138:139], v134, s[sgprSrdD:sgprSrdD+3] 0 offen offset:4 glc   // attempt write
	;; [unrolled: 4-line block ×12, first 2 shown]
s_waitcnt vmcnt(0)                                 // wait for atomic writes

/* apply masks and check for success */
s_mov_b64 exec, s[62:63]                           // must try again
v_cmp_ne_u32 s[58:59], v136, v137                  // c read during atomic != c read during prior load
s_and_b64 s[62:63], s[58:59], s[62:63]             // inBounds & must try again
s_mov_b64 exec, s[64:65]                           // must try again
v_cmp_ne_u32 s[58:59], v138, v139                  // c read during atomic != c read during prior load
s_and_b64 s[64:65], s[58:59], s[64:65]             // inBounds & must try again
	;; [unrolled: 3-line block ×12, first 2 shown]

/* or masks to check for exit */
s_mov_b64 s[58:59], 0x0                            // empty mask
s_or_b64 s[58:59], s[62:63], s[58:59]              // or to add threads
s_or_b64 s[58:59], s[64:65], s[58:59]              // or to add threads
	;; [unrolled: 1-line block ×12, first 2 shown]
s_or_saveexec_b64 s[60:61], s[58:59]               // apply combined mask
s_cbranch_execnz label_0045                        // try again if not complete
label_0046:
s_mov_b64 exec, -1                                 // full mask -> exec
/* optSingleColVgpr=0 optSharedColVgpr=0 optSGPRUsage=None optSrdIncForRow=0 */

/******************************************/
/* Global Write Alpha Batch #10 (d1,d0,vc1,vc0) = */
/*    (3,0,3,0:vw4:vaw:2); (3,1,3,0:vw4:vaw:2); (3,2,3,0:vw4:vaw:2); (3,3,3,0:vw4:vaw:2) */
/******************************************/

/* calc coords, apply mask, and issue loads (if necessary) */
/* (d1,vc1,d0,vc0)=(3,3,0,0) */

/* Fix for UseInitialStridesCD, emitAddressSetupCode */
_v_add_u32 v130, v130, s[sgprStrideC1J]            // ROWINC- Move cinRowPtr to next row
_v_add_u32 v131, v131, s[sgprStrideD1J]            // Move coutRowPtr to next row
_v_add_lshl_u32 v134, v131, v128, 0x1              // scaleToBpe: accumulate d0 lower and *= bpe into Cin addr
_buffer_load_b64 v[138:139], v134, s[sgprSrdD:sgprSrdD+3], 0, offen offset:0 // load D (atomic) bpm=8 vaw=2
/* (d1,vc1,d0,vc0)=(3,3,1,0) */
_v_add_co_u32 v132, vcc, v128, 64                  // coord0.1: coord0 += d0*sg0*VW + vc0
_v_add_lshl_u32 v135, v131, v132, 0x1              // scaleToBpe: accumulate d0 lower and *= bpe into Cin addr
_buffer_load_b64 v[142:143], v135, s[sgprSrdD:sgprSrdD+3], 0, offen offset:0 // load D (atomic) bpm=8 vaw=2
/* (d1,vc1,d0,vc0)=(3,3,2,0) */
s_mov_b32 s58, 128                                 // coordOffset0 d0=2 vc0=0
_v_add_co_u32 v132, vcc, v128, s58                 // coord0.2: coord0 += d0*sg0*VW + vc0
_v_add_lshl_u32 v144, v131, v132, 0x1              // scaleToBpe: accumulate d0 lower and *= bpe into Cin addr
_buffer_load_b64 v[150:151], v144, s[sgprSrdD:sgprSrdD+3], 0, offen offset:0 // load D (atomic) bpm=8 vaw=2
/* (d1,vc1,d0,vc0)=(3,3,3,0) */
s_mov_b32 s58, 192                                 // coordOffset0 d0=3 vc0=0
_v_add_co_u32 v132, vcc, v128, s58                 // coord0.2: coord0 += d0*sg0*VW + vc0
_v_add_lshl_u32 v145, v131, v132, 0x1              // scaleToBpe: accumulate d0 lower and *= bpe into Cin addr
_buffer_load_b64 v[154:155], v145, s[sgprSrdD:sgprSrdD+3], 0, offen offset:0 // load D (atomic) bpm=8 vaw=2

/* rC *= alpha batchElements=[(3, 0, 3, 0), (3, 1, 3, 0), (3, 2, 3, 0), (3, 3, 3, 0)] */
v_pk_mul_f16 v[vgprValuC+120], s[sgprAlpha], v[vgprValuC+120] // *= alpha sumIdx=240 vi=1
v_pk_mul_f16 v[vgprValuC+121], s[sgprAlpha], v[vgprValuC+121] // *= alpha sumIdx=240 vi=3
	;; [unrolled: 1-line block ×8, first 2 shown]
s_waitcnt vmcnt(0)                                 // wait C (atomic)

/* issue first atomic writes */
v_mov_b32 v137, v138                               // v_mov for reordering loaded data
v_pk_add_f16 v136, v137, v[vgprValuC+120]          // desired value
_buffer_atomic_cmpswap_b32 v[136:137], v134, s[sgprSrdD:sgprSrdD+3] 0 offen offset:0 glc   // attempt write
v_pk_add_f16 v138, v139, v[vgprValuC+121]          // desired value
_buffer_atomic_cmpswap_b32 v[138:139], v134, s[sgprSrdD:sgprSrdD+3] 0 offen offset:4 glc   // attempt write
v_mov_b32 v141, v142                               // v_mov for reordering loaded data
v_pk_add_f16 v140, v141, v[vgprValuC+122]          // desired value
_buffer_atomic_cmpswap_b32 v[140:141], v135, s[sgprSrdD:sgprSrdD+3] 0 offen offset:0 glc   // attempt write
v_pk_add_f16 v142, v143, v[vgprValuC+123]          // desired value
_buffer_atomic_cmpswap_b32 v[142:143], v135, s[sgprSrdD:sgprSrdD+3] 0 offen offset:4 glc   // attempt write
	;; [unrolled: 5-line block ×4, first 2 shown]
s_waitcnt vmcnt(0)                                 // wait for atomic writes

/* check success of writes, update masks */
v_cmp_ne_u32 s[62:63], v136, v137                  // c read during atomic != c read during prior load
v_cmp_ne_u32 s[64:65], v138, v139                  // c read during atomic != c read during prior load
	;; [unrolled: 1-line block ×8, first 2 shown]

/* or masks to check for exit */
s_mov_b64 s[58:59], 0x0                            // empty mask
s_or_b64 s[58:59], s[62:63], s[58:59]              // or to add threads
s_or_b64 s[58:59], s[64:65], s[58:59]              // or to add threads
	;; [unrolled: 1-line block ×8, first 2 shown]
s_or_saveexec_b64 s[60:61], s[58:59]               // apply combined mask
s_cbranch_execz label_0048                         // if exec is zero skip loop

/* atomic CAS loop */
label_0047:

/* apply updated masks and issue writes again */
s_mov_b64 exec, s[62:63]                           // must try again
v_mov_b32 v137, v136                               // dataV+1 = tmp (new original C)
v_pk_add_f16 v136, v137, v[vgprValuC+120]          // newC = rC + originalC
_buffer_atomic_cmpswap_b32 v[136:137], v134, s[sgprSrdD:sgprSrdD+3] 0 offen offset:0 glc   // attempt write
s_mov_b64 exec, s[64:65]                           // must try again
v_mov_b32 v139, v138                               // dataV+1 = tmp (new original C)
v_pk_add_f16 v138, v139, v[vgprValuC+121]          // newC = rC + originalC
_buffer_atomic_cmpswap_b32 v[138:139], v134, s[sgprSrdD:sgprSrdD+3] 0 offen offset:4 glc   // attempt write
	;; [unrolled: 4-line block ×8, first 2 shown]
s_waitcnt vmcnt(0)                                 // wait for atomic writes

/* apply masks and check for success */
s_mov_b64 exec, s[62:63]                           // must try again
v_cmp_ne_u32 s[58:59], v136, v137                  // c read during atomic != c read during prior load
s_and_b64 s[62:63], s[58:59], s[62:63]             // inBounds & must try again
s_mov_b64 exec, s[64:65]                           // must try again
v_cmp_ne_u32 s[58:59], v138, v139                  // c read during atomic != c read during prior load
s_and_b64 s[64:65], s[58:59], s[64:65]             // inBounds & must try again
	;; [unrolled: 3-line block ×8, first 2 shown]

/* or masks to check for exit */
s_mov_b64 s[58:59], 0x0                            // empty mask
s_or_b64 s[58:59], s[62:63], s[58:59]              // or to add threads
s_or_b64 s[58:59], s[64:65], s[58:59]              // or to add threads
	;; [unrolled: 1-line block ×8, first 2 shown]
s_or_saveexec_b64 s[60:61], s[58:59]               // apply combined mask
s_cbranch_execnz label_0047                        // try again if not complete
label_0048:
s_mov_b64 exec, -1                                 // full mask -> exec
s_branch label_GW_End_22                           // jump to end
GW_B0_E1_20:

/* edge=1, allocate 28 sgpr. perBatchTmpS=4 perBatchMaskS=0 perElementMaskS=2 elementsPerBatch=12 */
/* optSingleColVgpr=0 optSharedColVgpr=0 optSGPRUsage=None optSrdIncForRow=0 */

/******************************************/
/* Global Write Alpha Edge Batch #0 (d1,d0,vc1,vc0) = */
/*    (0,0,0,0:vw2:vaw:2); (0,0,0,2:vw2:vaw:2); (0,1,0,0:vw2:vaw:2); (0,1,0,2:vw2:vaw:2); (0,2,0,0:vw2:vaw:2); (0,2,0,2:vw2:vaw:2); (0,3,0,0:vw2:vaw:2); (0,3,0,2:vw2:vaw:2); (0,0,1,0:vw2:vaw:2); (0,0,1,2:vw2:vaw:2); (0,1,1,0:vw2:vaw:2); (0,1,1,2:vw2:vaw:2) */
/******************************************/

/* calc coords, apply mask, and issue loads (if necessary) */
/* (d1,vc1,d0,vc0)=(0,0,0,0) */
v_cmp_lt_u32 s[58:59], v128, s[sgprSizeI]          // coord0 < size0
v_cmp_lt_u32 s[62:63], v129, s[sgprSizeJ]          // coord1 < size1
s_and_b64 s[62:63], s[58:59], s[62:63]             // in0 && in1
_v_add_lshl_u32 v134, v131, v128, 0x1              // scaleToBpe: accumulate d0 lower and *= bpe into Cin addr
v_cndmask_b32 v134, -1, v134, s[62:63]             // LDD clip if OOB. offset
_buffer_load_b32 v137, v134, s[sgprSrdD:sgprSrdD+3], 0, offen offset:0 // load D (atomic) bpm=4 vaw=2
/* (d1,vc1,d0,vc0)=(0,0,0,2) */
_v_add_co_u32 v132, vcc, v128, 2                   // coord0.1: coord0 += d0*sg0*VW + vc0
v_cmp_lt_u32 s[58:59], v132, s[sgprSizeI]          // coord0 < size0
v_cmp_lt_u32 s[64:65], v129, s[sgprSizeJ]          // coord1 < size1
s_and_b64 s[64:65], s[58:59], s[64:65]             // in0 && in1
_v_add_lshl_u32 v135, v131, v132, 0x1              // scaleToBpe: accumulate d0 lower and *= bpe into Cin addr
v_cndmask_b32 v135, -1, v135, s[64:65]             // LDD clip if OOB. offset
_buffer_load_b32 v139, v135, s[sgprSrdD:sgprSrdD+3], 0, offen offset:0 // load D (atomic) bpm=4 vaw=2
/* (d1,vc1,d0,vc0)=(0,0,1,0) */
_v_add_co_u32 v132, vcc, v128, 64                  // coord0.1: coord0 += d0*sg0*VW + vc0
v_cmp_lt_u32 s[58:59], v132, s[sgprSizeI]          // coord0 < size0
v_cmp_lt_u32 s[66:67], v129, s[sgprSizeJ]          // coord1 < size1
s_and_b64 s[66:67], s[58:59], s[66:67]             // in0 && in1
_v_add_lshl_u32 v140, v131, v132, 0x1              // scaleToBpe: accumulate d0 lower and *= bpe into Cin addr
v_cndmask_b32 v140, -1, v140, s[66:67]             // LDD clip if OOB. offset
_buffer_load_b32 v143, v140, s[sgprSrdD:sgprSrdD+3], 0, offen offset:0 // load D (atomic) bpm=4 vaw=2
/* (d1,vc1,d0,vc0)=(0,0,1,2) */
s_mov_b32 s58, 66                                  // coordOffset0 d0=1 vc0=2
_v_add_co_u32 v132, vcc, v128, s58                 // coord0.2: coord0 += d0*sg0*VW + vc0
v_cmp_lt_u32 s[58:59], v132, s[sgprSizeI]          // coord0 < size0
v_cmp_lt_u32 s[68:69], v129, s[sgprSizeJ]          // coord1 < size1
s_and_b64 s[68:69], s[58:59], s[68:69]             // in0 && in1
_v_add_lshl_u32 v141, v131, v132, 0x1              // scaleToBpe: accumulate d0 lower and *= bpe into Cin addr
v_cndmask_b32 v141, -1, v141, s[68:69]             // LDD clip if OOB. offset
_buffer_load_b32 v145, v141, s[sgprSrdD:sgprSrdD+3], 0, offen offset:0 // load D (atomic) bpm=4 vaw=2
/* (d1,vc1,d0,vc0)=(0,0,2,0) */
s_mov_b32 s58, 128                                 // coordOffset0 d0=2 vc0=0
_v_add_co_u32 v132, vcc, v128, s58                 // coord0.2: coord0 += d0*sg0*VW + vc0
v_cmp_lt_u32 s[58:59], v132, s[sgprSizeI]          // coord0 < size0
v_cmp_lt_u32 s[70:71], v129, s[sgprSizeJ]          // coord1 < size1
s_and_b64 s[70:71], s[58:59], s[70:71]             // in0 && in1
_v_add_lshl_u32 v146, v131, v132, 0x1              // scaleToBpe: accumulate d0 lower and *= bpe into Cin addr
v_cndmask_b32 v146, -1, v146, s[70:71]             // LDD clip if OOB. offset
_buffer_load_b32 v149, v146, s[sgprSrdD:sgprSrdD+3], 0, offen offset:0 // load D (atomic) bpm=4 vaw=2
/* (d1,vc1,d0,vc0)=(0,0,2,2) */
s_mov_b32 s58, 130                                 // coordOffset0 d0=2 vc0=2
	;; [unrolled: 9-line block ×4, first 2 shown]
_v_add_co_u32 v132, vcc, v128, s58                 // coord0.2: coord0 += d0*sg0*VW + vc0
v_cmp_lt_u32 s[58:59], v132, s[sgprSizeI]          // coord0 < size0
v_cmp_lt_u32 s[76:77], v129, s[sgprSizeJ]          // coord1 < size1
s_and_b64 s[76:77], s[58:59], s[76:77]             // in0 && in1
_v_add_lshl_u32 v153, v131, v132, 0x1              // scaleToBpe: accumulate d0 lower and *= bpe into Cin addr
v_cndmask_b32 v153, -1, v153, s[76:77]             // LDD clip if OOB. offset
_buffer_load_b32 v157, v153, s[sgprSrdD:sgprSrdD+3], 0, offen offset:0 // load D (atomic) bpm=4 vaw=2
/* (d1,vc1,d0,vc0)=(0,1,0,0) */
_v_add_co_u32 v129, vcc, v129, 1                   // coord1.1: coord1Vgpr += d1*sg1*VW + vc1

/* Fix for UseInitialStridesCD, emitAddressSetupCode */
_v_add_u32 v130, v130, s[sgprStrideC1J]            // ROWINC- Move cinRowPtr to next row
_v_add_u32 v131, v131, s[sgprStrideD1J]            // Move coutRowPtr to next row
v_cmp_lt_u32 s[58:59], v128, s[sgprSizeI]          // coord0 < size0
v_cmp_lt_u32 s[78:79], v129, s[sgprSizeJ]          // coord1 < size1
s_and_b64 s[78:79], s[58:59], s[78:79]             // in0 && in1
_v_add_lshl_u32 v158, v131, v128, 0x1              // scaleToBpe: accumulate d0 lower and *= bpe into Cin addr
v_cndmask_b32 v158, -1, v158, s[78:79]             // LDD clip if OOB. offset
_buffer_load_b32 v161, v158, s[sgprSrdD:sgprSrdD+3], 0, offen offset:0 // load D (atomic) bpm=4 vaw=2
/* (d1,vc1,d0,vc0)=(0,1,0,2) */
_v_add_co_u32 v132, vcc, v128, 2                   // coord0.1: coord0 += d0*sg0*VW + vc0
v_cmp_lt_u32 s[58:59], v132, s[sgprSizeI]          // coord0 < size0
v_cmp_lt_u32 s[80:81], v129, s[sgprSizeJ]          // coord1 < size1
s_and_b64 s[80:81], s[58:59], s[80:81]             // in0 && in1
_v_add_lshl_u32 v159, v131, v132, 0x1              // scaleToBpe: accumulate d0 lower and *= bpe into Cin addr
v_cndmask_b32 v159, -1, v159, s[80:81]             // LDD clip if OOB. offset
_buffer_load_b32 v163, v159, s[sgprSrdD:sgprSrdD+3], 0, offen offset:0 // load D (atomic) bpm=4 vaw=2
/* (d1,vc1,d0,vc0)=(0,1,1,0) */
_v_add_co_u32 v132, vcc, v128, 64                  // coord0.1: coord0 += d0*sg0*VW + vc0
v_cmp_lt_u32 s[58:59], v132, s[sgprSizeI]          // coord0 < size0
v_cmp_lt_u32 s[82:83], v129, s[sgprSizeJ]          // coord1 < size1
s_and_b64 s[82:83], s[58:59], s[82:83]             // in0 && in1
_v_add_lshl_u32 v164, v131, v132, 0x1              // scaleToBpe: accumulate d0 lower and *= bpe into Cin addr
v_cndmask_b32 v164, -1, v164, s[82:83]             // LDD clip if OOB. offset
_buffer_load_b32 v167, v164, s[sgprSrdD:sgprSrdD+3], 0, offen offset:0 // load D (atomic) bpm=4 vaw=2
/* (d1,vc1,d0,vc0)=(0,1,1,2) */
s_mov_b32 s58, 66                                  // coordOffset0 d0=1 vc0=2
_v_add_co_u32 v132, vcc, v128, s58                 // coord0.2: coord0 += d0*sg0*VW + vc0
v_cmp_lt_u32 s[58:59], v132, s[sgprSizeI]          // coord0 < size0
v_cmp_lt_u32 s[84:85], v129, s[sgprSizeJ]          // coord1 < size1
s_and_b64 s[84:85], s[58:59], s[84:85]             // in0 && in1
_v_add_lshl_u32 v165, v131, v132, 0x1              // scaleToBpe: accumulate d0 lower and *= bpe into Cin addr
v_cndmask_b32 v165, -1, v165, s[84:85]             // LDD clip if OOB. offset
_buffer_load_b32 v169, v165, s[sgprSrdD:sgprSrdD+3], 0, offen offset:0 // load D (atomic) bpm=4 vaw=2

/* rC *= alpha batchElements=[(0, 0, 0, 0), (0, 0, 0, 2), (0, 1, 0, 0), (0, 1, 0, 2), (0, 2, 0, 0), (0, 2, 0, 2), (0, 3, 0, 0), (0, 3, 0, 2), (0, 0, 1, 0), (0, 0, 1, 2), (0, 1, 1, 0), (0, 1, 1, 2)] */
v_pk_mul_f16 v[vgprValuC+0], s[sgprAlpha], v[vgprValuC+0] // *= alpha sumIdx=0 vi=1
v_pk_mul_f16 v[vgprValuC+1], s[sgprAlpha], v[vgprValuC+1] // *= alpha sumIdx=2 vi=1
v_pk_mul_f16 v[vgprValuC+2], s[sgprAlpha], v[vgprValuC+2] // *= alpha sumIdx=4 vi=1
v_pk_mul_f16 v[vgprValuC+3], s[sgprAlpha], v[vgprValuC+3] // *= alpha sumIdx=6 vi=1
v_pk_mul_f16 v[vgprValuC+4], s[sgprAlpha], v[vgprValuC+4] // *= alpha sumIdx=8 vi=1
v_pk_mul_f16 v[vgprValuC+5], s[sgprAlpha], v[vgprValuC+5] // *= alpha sumIdx=10 vi=1
v_pk_mul_f16 v[vgprValuC+6], s[sgprAlpha], v[vgprValuC+6] // *= alpha sumIdx=12 vi=1
v_pk_mul_f16 v[vgprValuC+7], s[sgprAlpha], v[vgprValuC+7] // *= alpha sumIdx=14 vi=1
v_pk_mul_f16 v[vgprValuC+8], s[sgprAlpha], v[vgprValuC+8] // *= alpha sumIdx=16 vi=1
v_pk_mul_f16 v[vgprValuC+9], s[sgprAlpha], v[vgprValuC+9] // *= alpha sumIdx=18 vi=1
v_pk_mul_f16 v[vgprValuC+10], s[sgprAlpha], v[vgprValuC+10] // *= alpha sumIdx=20 vi=1
v_pk_mul_f16 v[vgprValuC+11], s[sgprAlpha], v[vgprValuC+11] // *= alpha sumIdx=22 vi=1
s_waitcnt vmcnt(0)                                 // wait C (atomic)

/* issue first atomic writes */
s_mov_b64 exec, s[62:63]                           // sgprs -> exec (before atomic)
v_pk_add_f16 v136, v137, v[vgprValuC+0]            // desired value
_buffer_atomic_cmpswap_b32 v[136:137], v134, s[sgprSrdD:sgprSrdD+3] 0 offen offset:0 glc   // attempt write
s_mov_b64 exec, s[64:65]                           // sgprs -> exec (before atomic)
v_pk_add_f16 v138, v139, v[vgprValuC+1]            // desired value
_buffer_atomic_cmpswap_b32 v[138:139], v135, s[sgprSrdD:sgprSrdD+3] 0 offen offset:0 glc   // attempt write
	;; [unrolled: 3-line block ×10, first 2 shown]
s_mov_b64 exec, s[82:83]                           // sgprs -> exec (before atomic)
v_pk_add_f16 v166, v167, v[vgprValuC+10]           // desired value
_buffer_atomic_cmpswap_b32 v[166:167], v164, s[sgprSrdD:sgprSrdD+3] 0 offen offset:0 glc   // attempt write
s_mov_b64 exec, s[84:85]                           // sgprs -> exec (before atomic)
v_pk_add_f16 v168, v169, v[vgprValuC+11]           // desired value
_buffer_atomic_cmpswap_b32 v[168:169], v165, s[sgprSrdD:sgprSrdD+3] 0 offen offset:0 glc   // attempt write
s_waitcnt vmcnt(0)                                 // wait for atomic writes

/* check success of writes, update masks */
s_mov_b64 exec, s[62:63]                           // sgprs -> exec
v_cmp_ne_u32 s[58:59], v136, v137                  // c read during atomic != c read during prior load
s_and_b64 s[62:63], s[58:59], s[62:63]             // inBounds & must try again
s_mov_b64 exec, s[64:65]                           // sgprs -> exec
v_cmp_ne_u32 s[58:59], v138, v139                  // c read during atomic != c read during prior load
s_and_b64 s[64:65], s[58:59], s[64:65]             // inBounds & must try again
	;; [unrolled: 3-line block ×12, first 2 shown]

/* or masks to check for exit */
s_mov_b64 s[58:59], 0x0                            // empty mask
s_or_b64 s[58:59], s[62:63], s[58:59]              // or to add threads
s_or_b64 s[58:59], s[64:65], s[58:59]              // or to add threads
	;; [unrolled: 1-line block ×12, first 2 shown]
s_or_saveexec_b64 s[60:61], s[58:59]               // apply combined mask
s_cbranch_execz label_0050                         // if exec is zero skip loop

/* atomic CAS loop */
label_0049:

/* apply updated masks and issue writes again */
s_mov_b64 exec, s[62:63]                           // must try again
v_mov_b32 v137, v136                               // dataV+1 = tmp (new original C)
v_pk_add_f16 v136, v137, v[vgprValuC+0]            // newC = rC + originalC
_buffer_atomic_cmpswap_b32 v[136:137], v134, s[sgprSrdD:sgprSrdD+3] 0 offen offset:0 glc   // attempt write
s_mov_b64 exec, s[64:65]                           // must try again
v_mov_b32 v139, v138                               // dataV+1 = tmp (new original C)
v_pk_add_f16 v138, v139, v[vgprValuC+1]            // newC = rC + originalC
_buffer_atomic_cmpswap_b32 v[138:139], v135, s[sgprSrdD:sgprSrdD+3] 0 offen offset:0 glc   // attempt write
	;; [unrolled: 4-line block ×10, first 2 shown]
s_mov_b64 exec, s[82:83]                           // must try again
v_mov_b32 v167, v166                               // dataV+1 = tmp (new original C)
v_pk_add_f16 v166, v167, v[vgprValuC+10]           // newC = rC + originalC
_buffer_atomic_cmpswap_b32 v[166:167], v164, s[sgprSrdD:sgprSrdD+3] 0 offen offset:0 glc   // attempt write
s_mov_b64 exec, s[84:85]                           // must try again
v_mov_b32 v169, v168                               // dataV+1 = tmp (new original C)
v_pk_add_f16 v168, v169, v[vgprValuC+11]           // newC = rC + originalC
_buffer_atomic_cmpswap_b32 v[168:169], v165, s[sgprSrdD:sgprSrdD+3] 0 offen offset:0 glc   // attempt write
s_waitcnt vmcnt(0)                                 // wait for atomic writes

/* apply masks and check for success */
s_mov_b64 exec, s[62:63]                           // must try again
v_cmp_ne_u32 s[58:59], v136, v137                  // c read during atomic != c read during prior load
s_and_b64 s[62:63], s[58:59], s[62:63]             // inBounds & must try again
s_mov_b64 exec, s[64:65]                           // must try again
v_cmp_ne_u32 s[58:59], v138, v139                  // c read during atomic != c read during prior load
s_and_b64 s[64:65], s[58:59], s[64:65]             // inBounds & must try again
	;; [unrolled: 3-line block ×12, first 2 shown]

/* or masks to check for exit */
s_mov_b64 s[58:59], 0x0                            // empty mask
s_or_b64 s[58:59], s[62:63], s[58:59]              // or to add threads
s_or_b64 s[58:59], s[64:65], s[58:59]              // or to add threads
	;; [unrolled: 1-line block ×12, first 2 shown]
s_or_saveexec_b64 s[60:61], s[58:59]               // apply combined mask
s_cbranch_execnz label_0049                        // try again if not complete
label_0050:
s_mov_b64 exec, -1                                 // full mask -> exec
/* optSingleColVgpr=0 optSharedColVgpr=0 optSGPRUsage=None optSrdIncForRow=0 */

/******************************************/
/* Global Write Alpha Edge Batch #1 (d1,d0,vc1,vc0) = */
/*    (0,2,1,0:vw2:vaw:2); (0,2,1,2:vw2:vaw:2); (0,3,1,0:vw2:vaw:2); (0,3,1,2:vw2:vaw:2); (0,0,2,0:vw2:vaw:2); (0,0,2,2:vw2:vaw:2); (0,1,2,0:vw2:vaw:2); (0,1,2,2:vw2:vaw:2); (0,2,2,0:vw2:vaw:2); (0,2,2,2:vw2:vaw:2); (0,3,2,0:vw2:vaw:2); (0,3,2,2:vw2:vaw:2) */
/******************************************/

/* calc coords, apply mask, and issue loads (if necessary) */
/* (d1,vc1,d0,vc0)=(0,1,2,0) */
s_mov_b32 s58, 128                                 // coordOffset0 d0=2 vc0=0
_v_add_co_u32 v132, vcc, v128, s58                 // coord0.2: coord0 += d0*sg0*VW + vc0
v_cmp_lt_u32 s[58:59], v132, s[sgprSizeI]          // coord0 < size0
v_cmp_lt_u32 s[62:63], v129, s[sgprSizeJ]          // coord1 < size1
s_and_b64 s[62:63], s[58:59], s[62:63]             // in0 && in1
_v_add_lshl_u32 v134, v131, v132, 0x1              // scaleToBpe: accumulate d0 lower and *= bpe into Cin addr
v_cndmask_b32 v134, -1, v134, s[62:63]             // LDD clip if OOB. offset
_buffer_load_b32 v137, v134, s[sgprSrdD:sgprSrdD+3], 0, offen offset:0 // load D (atomic) bpm=4 vaw=2
/* (d1,vc1,d0,vc0)=(0,1,2,2) */
s_mov_b32 s58, 130                                 // coordOffset0 d0=2 vc0=2
_v_add_co_u32 v132, vcc, v128, s58                 // coord0.2: coord0 += d0*sg0*VW + vc0
v_cmp_lt_u32 s[58:59], v132, s[sgprSizeI]          // coord0 < size0
v_cmp_lt_u32 s[64:65], v129, s[sgprSizeJ]          // coord1 < size1
s_and_b64 s[64:65], s[58:59], s[64:65]             // in0 && in1
_v_add_lshl_u32 v135, v131, v132, 0x1              // scaleToBpe: accumulate d0 lower and *= bpe into Cin addr
v_cndmask_b32 v135, -1, v135, s[64:65]             // LDD clip if OOB. offset
_buffer_load_b32 v139, v135, s[sgprSrdD:sgprSrdD+3], 0, offen offset:0 // load D (atomic) bpm=4 vaw=2
	;; [unrolled: 9-line block ×4, first 2 shown]
/* (d1,vc1,d0,vc0)=(0,2,0,0) */
_v_add_co_u32 v129, vcc, v129, 1                   // coord1.1: coord1Vgpr += d1*sg1*VW + vc1

/* Fix for UseInitialStridesCD, emitAddressSetupCode */
_v_add_u32 v130, v130, s[sgprStrideC1J]            // ROWINC- Move cinRowPtr to next row
_v_add_u32 v131, v131, s[sgprStrideD1J]            // Move coutRowPtr to next row
v_cmp_lt_u32 s[58:59], v128, s[sgprSizeI]          // coord0 < size0
v_cmp_lt_u32 s[70:71], v129, s[sgprSizeJ]          // coord1 < size1
s_and_b64 s[70:71], s[58:59], s[70:71]             // in0 && in1
_v_add_lshl_u32 v146, v131, v128, 0x1              // scaleToBpe: accumulate d0 lower and *= bpe into Cin addr
v_cndmask_b32 v146, -1, v146, s[70:71]             // LDD clip if OOB. offset
_buffer_load_b32 v149, v146, s[sgprSrdD:sgprSrdD+3], 0, offen offset:0 // load D (atomic) bpm=4 vaw=2
/* (d1,vc1,d0,vc0)=(0,2,0,2) */
_v_add_co_u32 v132, vcc, v128, 2                   // coord0.1: coord0 += d0*sg0*VW + vc0
v_cmp_lt_u32 s[58:59], v132, s[sgprSizeI]          // coord0 < size0
v_cmp_lt_u32 s[72:73], v129, s[sgprSizeJ]          // coord1 < size1
s_and_b64 s[72:73], s[58:59], s[72:73]             // in0 && in1
_v_add_lshl_u32 v147, v131, v132, 0x1              // scaleToBpe: accumulate d0 lower and *= bpe into Cin addr
v_cndmask_b32 v147, -1, v147, s[72:73]             // LDD clip if OOB. offset
_buffer_load_b32 v151, v147, s[sgprSrdD:sgprSrdD+3], 0, offen offset:0 // load D (atomic) bpm=4 vaw=2
/* (d1,vc1,d0,vc0)=(0,2,1,0) */
_v_add_co_u32 v132, vcc, v128, 64                  // coord0.1: coord0 += d0*sg0*VW + vc0
v_cmp_lt_u32 s[58:59], v132, s[sgprSizeI]          // coord0 < size0
v_cmp_lt_u32 s[74:75], v129, s[sgprSizeJ]          // coord1 < size1
s_and_b64 s[74:75], s[58:59], s[74:75]             // in0 && in1
_v_add_lshl_u32 v152, v131, v132, 0x1              // scaleToBpe: accumulate d0 lower and *= bpe into Cin addr
v_cndmask_b32 v152, -1, v152, s[74:75]             // LDD clip if OOB. offset
_buffer_load_b32 v155, v152, s[sgprSrdD:sgprSrdD+3], 0, offen offset:0 // load D (atomic) bpm=4 vaw=2
/* (d1,vc1,d0,vc0)=(0,2,1,2) */
s_mov_b32 s58, 66                                  // coordOffset0 d0=1 vc0=2
_v_add_co_u32 v132, vcc, v128, s58                 // coord0.2: coord0 += d0*sg0*VW + vc0
v_cmp_lt_u32 s[58:59], v132, s[sgprSizeI]          // coord0 < size0
v_cmp_lt_u32 s[76:77], v129, s[sgprSizeJ]          // coord1 < size1
s_and_b64 s[76:77], s[58:59], s[76:77]             // in0 && in1
_v_add_lshl_u32 v153, v131, v132, 0x1              // scaleToBpe: accumulate d0 lower and *= bpe into Cin addr
v_cndmask_b32 v153, -1, v153, s[76:77]             // LDD clip if OOB. offset
_buffer_load_b32 v157, v153, s[sgprSrdD:sgprSrdD+3], 0, offen offset:0 // load D (atomic) bpm=4 vaw=2
/* (d1,vc1,d0,vc0)=(0,2,2,0) */
s_mov_b32 s58, 128                                 // coordOffset0 d0=2 vc0=0
_v_add_co_u32 v132, vcc, v128, s58                 // coord0.2: coord0 += d0*sg0*VW + vc0
v_cmp_lt_u32 s[58:59], v132, s[sgprSizeI]          // coord0 < size0
v_cmp_lt_u32 s[78:79], v129, s[sgprSizeJ]          // coord1 < size1
s_and_b64 s[78:79], s[58:59], s[78:79]             // in0 && in1
_v_add_lshl_u32 v158, v131, v132, 0x1              // scaleToBpe: accumulate d0 lower and *= bpe into Cin addr
v_cndmask_b32 v158, -1, v158, s[78:79]             // LDD clip if OOB. offset
_buffer_load_b32 v161, v158, s[sgprSrdD:sgprSrdD+3], 0, offen offset:0 // load D (atomic) bpm=4 vaw=2
/* (d1,vc1,d0,vc0)=(0,2,2,2) */
s_mov_b32 s58, 130                                 // coordOffset0 d0=2 vc0=2
	;; [unrolled: 9-line block ×4, first 2 shown]
_v_add_co_u32 v132, vcc, v128, s58                 // coord0.2: coord0 += d0*sg0*VW + vc0
v_cmp_lt_u32 s[58:59], v132, s[sgprSizeI]          // coord0 < size0
v_cmp_lt_u32 s[84:85], v129, s[sgprSizeJ]          // coord1 < size1
s_and_b64 s[84:85], s[58:59], s[84:85]             // in0 && in1
_v_add_lshl_u32 v165, v131, v132, 0x1              // scaleToBpe: accumulate d0 lower and *= bpe into Cin addr
v_cndmask_b32 v165, -1, v165, s[84:85]             // LDD clip if OOB. offset
_buffer_load_b32 v169, v165, s[sgprSrdD:sgprSrdD+3], 0, offen offset:0 // load D (atomic) bpm=4 vaw=2

/* rC *= alpha batchElements=[(0, 2, 1, 0), (0, 2, 1, 2), (0, 3, 1, 0), (0, 3, 1, 2), (0, 0, 2, 0), (0, 0, 2, 2), (0, 1, 2, 0), (0, 1, 2, 2), (0, 2, 2, 0), (0, 2, 2, 2), (0, 3, 2, 0), (0, 3, 2, 2)] */
v_pk_mul_f16 v[vgprValuC+12], s[sgprAlpha], v[vgprValuC+12] // *= alpha sumIdx=24 vi=1
v_pk_mul_f16 v[vgprValuC+13], s[sgprAlpha], v[vgprValuC+13] // *= alpha sumIdx=26 vi=1
	;; [unrolled: 1-line block ×12, first 2 shown]
s_waitcnt vmcnt(0)                                 // wait C (atomic)

/* issue first atomic writes */
s_mov_b64 exec, s[62:63]                           // sgprs -> exec (before atomic)
v_pk_add_f16 v136, v137, v[vgprValuC+12]           // desired value
_buffer_atomic_cmpswap_b32 v[136:137], v134, s[sgprSrdD:sgprSrdD+3] 0 offen offset:0 glc   // attempt write
s_mov_b64 exec, s[64:65]                           // sgprs -> exec (before atomic)
v_pk_add_f16 v138, v139, v[vgprValuC+13]           // desired value
_buffer_atomic_cmpswap_b32 v[138:139], v135, s[sgprSrdD:sgprSrdD+3] 0 offen offset:0 glc   // attempt write
	;; [unrolled: 3-line block ×12, first 2 shown]
s_waitcnt vmcnt(0)                                 // wait for atomic writes

/* check success of writes, update masks */
s_mov_b64 exec, s[62:63]                           // sgprs -> exec
v_cmp_ne_u32 s[58:59], v136, v137                  // c read during atomic != c read during prior load
s_and_b64 s[62:63], s[58:59], s[62:63]             // inBounds & must try again
s_mov_b64 exec, s[64:65]                           // sgprs -> exec
v_cmp_ne_u32 s[58:59], v138, v139                  // c read during atomic != c read during prior load
s_and_b64 s[64:65], s[58:59], s[64:65]             // inBounds & must try again
	;; [unrolled: 3-line block ×12, first 2 shown]

/* or masks to check for exit */
s_mov_b64 s[58:59], 0x0                            // empty mask
s_or_b64 s[58:59], s[62:63], s[58:59]              // or to add threads
s_or_b64 s[58:59], s[64:65], s[58:59]              // or to add threads
	;; [unrolled: 1-line block ×12, first 2 shown]
s_or_saveexec_b64 s[60:61], s[58:59]               // apply combined mask
s_cbranch_execz label_0052                         // if exec is zero skip loop

/* atomic CAS loop */
label_0051:

/* apply updated masks and issue writes again */
s_mov_b64 exec, s[62:63]                           // must try again
v_mov_b32 v137, v136                               // dataV+1 = tmp (new original C)
v_pk_add_f16 v136, v137, v[vgprValuC+12]           // newC = rC + originalC
_buffer_atomic_cmpswap_b32 v[136:137], v134, s[sgprSrdD:sgprSrdD+3] 0 offen offset:0 glc   // attempt write
s_mov_b64 exec, s[64:65]                           // must try again
v_mov_b32 v139, v138                               // dataV+1 = tmp (new original C)
v_pk_add_f16 v138, v139, v[vgprValuC+13]           // newC = rC + originalC
_buffer_atomic_cmpswap_b32 v[138:139], v135, s[sgprSrdD:sgprSrdD+3] 0 offen offset:0 glc   // attempt write
	;; [unrolled: 4-line block ×12, first 2 shown]
s_waitcnt vmcnt(0)                                 // wait for atomic writes

/* apply masks and check for success */
s_mov_b64 exec, s[62:63]                           // must try again
v_cmp_ne_u32 s[58:59], v136, v137                  // c read during atomic != c read during prior load
s_and_b64 s[62:63], s[58:59], s[62:63]             // inBounds & must try again
s_mov_b64 exec, s[64:65]                           // must try again
v_cmp_ne_u32 s[58:59], v138, v139                  // c read during atomic != c read during prior load
s_and_b64 s[64:65], s[58:59], s[64:65]             // inBounds & must try again
	;; [unrolled: 3-line block ×12, first 2 shown]

/* or masks to check for exit */
s_mov_b64 s[58:59], 0x0                            // empty mask
s_or_b64 s[58:59], s[62:63], s[58:59]              // or to add threads
s_or_b64 s[58:59], s[64:65], s[58:59]              // or to add threads
	;; [unrolled: 1-line block ×12, first 2 shown]
s_or_saveexec_b64 s[60:61], s[58:59]               // apply combined mask
s_cbranch_execnz label_0051                        // try again if not complete
label_0052:
s_mov_b64 exec, -1                                 // full mask -> exec
/* optSingleColVgpr=0 optSharedColVgpr=0 optSGPRUsage=None optSrdIncForRow=0 */

/******************************************/
/* Global Write Alpha Edge Batch #2 (d1,d0,vc1,vc0) = */
/*    (0,0,3,0:vw2:vaw:2); (0,0,3,2:vw2:vaw:2); (0,1,3,0:vw2:vaw:2); (0,1,3,2:vw2:vaw:2); (0,2,3,0:vw2:vaw:2); (0,2,3,2:vw2:vaw:2); (0,3,3,0:vw2:vaw:2); (0,3,3,2:vw2:vaw:2); (1,0,0,0:vw2:vaw:2); (1,0,0,2:vw2:vaw:2); (1,1,0,0:vw2:vaw:2); (1,1,0,2:vw2:vaw:2) */
/******************************************/

/* calc coords, apply mask, and issue loads (if necessary) */
/* (d1,vc1,d0,vc0)=(0,3,0,0) */
_v_add_co_u32 v129, vcc, v129, 1                   // coord1.1: coord1Vgpr += d1*sg1*VW + vc1

/* Fix for UseInitialStridesCD, emitAddressSetupCode */
_v_add_u32 v130, v130, s[sgprStrideC1J]            // ROWINC- Move cinRowPtr to next row
_v_add_u32 v131, v131, s[sgprStrideD1J]            // Move coutRowPtr to next row
v_cmp_lt_u32 s[58:59], v128, s[sgprSizeI]          // coord0 < size0
v_cmp_lt_u32 s[62:63], v129, s[sgprSizeJ]          // coord1 < size1
s_and_b64 s[62:63], s[58:59], s[62:63]             // in0 && in1
_v_add_lshl_u32 v134, v131, v128, 0x1              // scaleToBpe: accumulate d0 lower and *= bpe into Cin addr
v_cndmask_b32 v134, -1, v134, s[62:63]             // LDD clip if OOB. offset
_buffer_load_b32 v137, v134, s[sgprSrdD:sgprSrdD+3], 0, offen offset:0 // load D (atomic) bpm=4 vaw=2
/* (d1,vc1,d0,vc0)=(0,3,0,2) */
_v_add_co_u32 v132, vcc, v128, 2                   // coord0.1: coord0 += d0*sg0*VW + vc0
v_cmp_lt_u32 s[58:59], v132, s[sgprSizeI]          // coord0 < size0
v_cmp_lt_u32 s[64:65], v129, s[sgprSizeJ]          // coord1 < size1
s_and_b64 s[64:65], s[58:59], s[64:65]             // in0 && in1
_v_add_lshl_u32 v135, v131, v132, 0x1              // scaleToBpe: accumulate d0 lower and *= bpe into Cin addr
v_cndmask_b32 v135, -1, v135, s[64:65]             // LDD clip if OOB. offset
_buffer_load_b32 v139, v135, s[sgprSrdD:sgprSrdD+3], 0, offen offset:0 // load D (atomic) bpm=4 vaw=2
/* (d1,vc1,d0,vc0)=(0,3,1,0) */
_v_add_co_u32 v132, vcc, v128, 64                  // coord0.1: coord0 += d0*sg0*VW + vc0
v_cmp_lt_u32 s[58:59], v132, s[sgprSizeI]          // coord0 < size0
v_cmp_lt_u32 s[66:67], v129, s[sgprSizeJ]          // coord1 < size1
s_and_b64 s[66:67], s[58:59], s[66:67]             // in0 && in1
_v_add_lshl_u32 v140, v131, v132, 0x1              // scaleToBpe: accumulate d0 lower and *= bpe into Cin addr
v_cndmask_b32 v140, -1, v140, s[66:67]             // LDD clip if OOB. offset
_buffer_load_b32 v143, v140, s[sgprSrdD:sgprSrdD+3], 0, offen offset:0 // load D (atomic) bpm=4 vaw=2
/* (d1,vc1,d0,vc0)=(0,3,1,2) */
s_mov_b32 s58, 66                                  // coordOffset0 d0=1 vc0=2
_v_add_co_u32 v132, vcc, v128, s58                 // coord0.2: coord0 += d0*sg0*VW + vc0
v_cmp_lt_u32 s[58:59], v132, s[sgprSizeI]          // coord0 < size0
v_cmp_lt_u32 s[68:69], v129, s[sgprSizeJ]          // coord1 < size1
s_and_b64 s[68:69], s[58:59], s[68:69]             // in0 && in1
_v_add_lshl_u32 v141, v131, v132, 0x1              // scaleToBpe: accumulate d0 lower and *= bpe into Cin addr
v_cndmask_b32 v141, -1, v141, s[68:69]             // LDD clip if OOB. offset
_buffer_load_b32 v145, v141, s[sgprSrdD:sgprSrdD+3], 0, offen offset:0 // load D (atomic) bpm=4 vaw=2
/* (d1,vc1,d0,vc0)=(0,3,2,0) */
s_mov_b32 s58, 128                                 // coordOffset0 d0=2 vc0=0
_v_add_co_u32 v132, vcc, v128, s58                 // coord0.2: coord0 += d0*sg0*VW + vc0
v_cmp_lt_u32 s[58:59], v132, s[sgprSizeI]          // coord0 < size0
v_cmp_lt_u32 s[70:71], v129, s[sgprSizeJ]          // coord1 < size1
s_and_b64 s[70:71], s[58:59], s[70:71]             // in0 && in1
_v_add_lshl_u32 v146, v131, v132, 0x1              // scaleToBpe: accumulate d0 lower and *= bpe into Cin addr
v_cndmask_b32 v146, -1, v146, s[70:71]             // LDD clip if OOB. offset
_buffer_load_b32 v149, v146, s[sgprSrdD:sgprSrdD+3], 0, offen offset:0 // load D (atomic) bpm=4 vaw=2
/* (d1,vc1,d0,vc0)=(0,3,2,2) */
s_mov_b32 s58, 130                                 // coordOffset0 d0=2 vc0=2
	;; [unrolled: 9-line block ×4, first 2 shown]
_v_add_co_u32 v132, vcc, v128, s58                 // coord0.2: coord0 += d0*sg0*VW + vc0
v_cmp_lt_u32 s[58:59], v132, s[sgprSizeI]          // coord0 < size0
v_cmp_lt_u32 s[76:77], v129, s[sgprSizeJ]          // coord1 < size1
s_and_b64 s[76:77], s[58:59], s[76:77]             // in0 && in1
_v_add_lshl_u32 v153, v131, v132, 0x1              // scaleToBpe: accumulate d0 lower and *= bpe into Cin addr
v_cndmask_b32 v153, -1, v153, s[76:77]             // LDD clip if OOB. offset
_buffer_load_b32 v157, v153, s[sgprSrdD:sgprSrdD+3], 0, offen offset:0 // load D (atomic) bpm=4 vaw=2
/* (d1,vc1,d0,vc0)=(1,0,0,0) */
_v_add_co_u32 v129, vcc, v129, 61                  // coord1.1: coord1Vgpr += d1*sg1*VW + vc1

/* Fix for UseInitialStridesCD, emitAddressSetupCode */
s_mul_i32 s58, s[sgprStrideC1J], 61                // scale stride
_v_add_u32 v130, v130, s58                         // ROWINC- Move cinRowPtr to next row
s_mul_i32 s58, s[sgprStrideD1J], 61                // scale stride
_v_add_u32 v131, v131, s58                         // Move coutRowPtr to next row
v_cmp_lt_u32 s[58:59], v128, s[sgprSizeI]          // coord0 < size0
v_cmp_lt_u32 s[78:79], v129, s[sgprSizeJ]          // coord1 < size1
s_and_b64 s[78:79], s[58:59], s[78:79]             // in0 && in1
_v_add_lshl_u32 v158, v131, v128, 0x1              // scaleToBpe: accumulate d0 lower and *= bpe into Cin addr
v_cndmask_b32 v158, -1, v158, s[78:79]             // LDD clip if OOB. offset
_buffer_load_b32 v161, v158, s[sgprSrdD:sgprSrdD+3], 0, offen offset:0 // load D (atomic) bpm=4 vaw=2
/* (d1,vc1,d0,vc0)=(1,0,0,2) */
_v_add_co_u32 v132, vcc, v128, 2                   // coord0.1: coord0 += d0*sg0*VW + vc0
v_cmp_lt_u32 s[58:59], v132, s[sgprSizeI]          // coord0 < size0
v_cmp_lt_u32 s[80:81], v129, s[sgprSizeJ]          // coord1 < size1
s_and_b64 s[80:81], s[58:59], s[80:81]             // in0 && in1
_v_add_lshl_u32 v159, v131, v132, 0x1              // scaleToBpe: accumulate d0 lower and *= bpe into Cin addr
v_cndmask_b32 v159, -1, v159, s[80:81]             // LDD clip if OOB. offset
_buffer_load_b32 v163, v159, s[sgprSrdD:sgprSrdD+3], 0, offen offset:0 // load D (atomic) bpm=4 vaw=2
/* (d1,vc1,d0,vc0)=(1,0,1,0) */
_v_add_co_u32 v132, vcc, v128, 64                  // coord0.1: coord0 += d0*sg0*VW + vc0
v_cmp_lt_u32 s[58:59], v132, s[sgprSizeI]          // coord0 < size0
v_cmp_lt_u32 s[82:83], v129, s[sgprSizeJ]          // coord1 < size1
s_and_b64 s[82:83], s[58:59], s[82:83]             // in0 && in1
_v_add_lshl_u32 v164, v131, v132, 0x1              // scaleToBpe: accumulate d0 lower and *= bpe into Cin addr
v_cndmask_b32 v164, -1, v164, s[82:83]             // LDD clip if OOB. offset
_buffer_load_b32 v167, v164, s[sgprSrdD:sgprSrdD+3], 0, offen offset:0 // load D (atomic) bpm=4 vaw=2
/* (d1,vc1,d0,vc0)=(1,0,1,2) */
s_mov_b32 s58, 66                                  // coordOffset0 d0=1 vc0=2
_v_add_co_u32 v132, vcc, v128, s58                 // coord0.2: coord0 += d0*sg0*VW + vc0
v_cmp_lt_u32 s[58:59], v132, s[sgprSizeI]          // coord0 < size0
v_cmp_lt_u32 s[84:85], v129, s[sgprSizeJ]          // coord1 < size1
s_and_b64 s[84:85], s[58:59], s[84:85]             // in0 && in1
_v_add_lshl_u32 v165, v131, v132, 0x1              // scaleToBpe: accumulate d0 lower and *= bpe into Cin addr
v_cndmask_b32 v165, -1, v165, s[84:85]             // LDD clip if OOB. offset
_buffer_load_b32 v169, v165, s[sgprSrdD:sgprSrdD+3], 0, offen offset:0 // load D (atomic) bpm=4 vaw=2

/* rC *= alpha batchElements=[(0, 0, 3, 0), (0, 0, 3, 2), (0, 1, 3, 0), (0, 1, 3, 2), (0, 2, 3, 0), (0, 2, 3, 2), (0, 3, 3, 0), (0, 3, 3, 2), (1, 0, 0, 0), (1, 0, 0, 2), (1, 1, 0, 0), (1, 1, 0, 2)] */
v_pk_mul_f16 v[vgprValuC+24], s[sgprAlpha], v[vgprValuC+24] // *= alpha sumIdx=48 vi=1
v_pk_mul_f16 v[vgprValuC+25], s[sgprAlpha], v[vgprValuC+25] // *= alpha sumIdx=50 vi=1
	;; [unrolled: 1-line block ×12, first 2 shown]
s_waitcnt vmcnt(0)                                 // wait C (atomic)

/* issue first atomic writes */
s_mov_b64 exec, s[62:63]                           // sgprs -> exec (before atomic)
v_pk_add_f16 v136, v137, v[vgprValuC+24]           // desired value
_buffer_atomic_cmpswap_b32 v[136:137], v134, s[sgprSrdD:sgprSrdD+3] 0 offen offset:0 glc   // attempt write
s_mov_b64 exec, s[64:65]                           // sgprs -> exec (before atomic)
v_pk_add_f16 v138, v139, v[vgprValuC+25]           // desired value
_buffer_atomic_cmpswap_b32 v[138:139], v135, s[sgprSrdD:sgprSrdD+3] 0 offen offset:0 glc   // attempt write
s_mov_b64 exec, s[66:67]                           // sgprs -> exec (before atomic)
v_pk_add_f16 v142, v143, v[vgprValuC+26]           // desired value
_buffer_atomic_cmpswap_b32 v[142:143], v140, s[sgprSrdD:sgprSrdD+3] 0 offen offset:0 glc   // attempt write
s_mov_b64 exec, s[68:69]                           // sgprs -> exec (before atomic)
v_pk_add_f16 v144, v145, v[vgprValuC+27]           // desired value
_buffer_atomic_cmpswap_b32 v[144:145], v141, s[sgprSrdD:sgprSrdD+3] 0 offen offset:0 glc   // attempt write
s_mov_b64 exec, s[70:71]                           // sgprs -> exec (before atomic)
v_pk_add_f16 v148, v149, v[vgprValuC+28]           // desired value
_buffer_atomic_cmpswap_b32 v[148:149], v146, s[sgprSrdD:sgprSrdD+3] 0 offen offset:0 glc   // attempt write
s_mov_b64 exec, s[72:73]                           // sgprs -> exec (before atomic)
v_pk_add_f16 v150, v151, v[vgprValuC+29]           // desired value
_buffer_atomic_cmpswap_b32 v[150:151], v147, s[sgprSrdD:sgprSrdD+3] 0 offen offset:0 glc   // attempt write
s_mov_b64 exec, s[74:75]                           // sgprs -> exec (before atomic)
v_pk_add_f16 v154, v155, v[vgprValuC+30]           // desired value
_buffer_atomic_cmpswap_b32 v[154:155], v152, s[sgprSrdD:sgprSrdD+3] 0 offen offset:0 glc   // attempt write
s_mov_b64 exec, s[76:77]                           // sgprs -> exec (before atomic)
v_pk_add_f16 v156, v157, v[vgprValuC+31]           // desired value
_buffer_atomic_cmpswap_b32 v[156:157], v153, s[sgprSrdD:sgprSrdD+3] 0 offen offset:0 glc   // attempt write
s_mov_b64 exec, s[78:79]                           // sgprs -> exec (before atomic)
v_pk_add_f16 v160, v161, v[vgprValuC+32]           // desired value
_buffer_atomic_cmpswap_b32 v[160:161], v158, s[sgprSrdD:sgprSrdD+3] 0 offen offset:0 glc   // attempt write
s_mov_b64 exec, s[80:81]                           // sgprs -> exec (before atomic)
v_pk_add_f16 v162, v163, v[vgprValuC+33]           // desired value
_buffer_atomic_cmpswap_b32 v[162:163], v159, s[sgprSrdD:sgprSrdD+3] 0 offen offset:0 glc   // attempt write
s_mov_b64 exec, s[82:83]                           // sgprs -> exec (before atomic)
v_pk_add_f16 v166, v167, v[vgprValuC+34]           // desired value
_buffer_atomic_cmpswap_b32 v[166:167], v164, s[sgprSrdD:sgprSrdD+3] 0 offen offset:0 glc   // attempt write
s_mov_b64 exec, s[84:85]                           // sgprs -> exec (before atomic)
v_pk_add_f16 v168, v169, v[vgprValuC+35]           // desired value
_buffer_atomic_cmpswap_b32 v[168:169], v165, s[sgprSrdD:sgprSrdD+3] 0 offen offset:0 glc   // attempt write
s_waitcnt vmcnt(0)                                 // wait for atomic writes

/* check success of writes, update masks */
s_mov_b64 exec, s[62:63]                           // sgprs -> exec
v_cmp_ne_u32 s[58:59], v136, v137                  // c read during atomic != c read during prior load
s_and_b64 s[62:63], s[58:59], s[62:63]             // inBounds & must try again
s_mov_b64 exec, s[64:65]                           // sgprs -> exec
v_cmp_ne_u32 s[58:59], v138, v139                  // c read during atomic != c read during prior load
s_and_b64 s[64:65], s[58:59], s[64:65]             // inBounds & must try again
	;; [unrolled: 3-line block ×12, first 2 shown]

/* or masks to check for exit */
s_mov_b64 s[58:59], 0x0                            // empty mask
s_or_b64 s[58:59], s[62:63], s[58:59]              // or to add threads
s_or_b64 s[58:59], s[64:65], s[58:59]              // or to add threads
	;; [unrolled: 1-line block ×12, first 2 shown]
s_or_saveexec_b64 s[60:61], s[58:59]               // apply combined mask
s_cbranch_execz label_0054                         // if exec is zero skip loop

/* atomic CAS loop */
label_0053:

/* apply updated masks and issue writes again */
s_mov_b64 exec, s[62:63]                           // must try again
v_mov_b32 v137, v136                               // dataV+1 = tmp (new original C)
v_pk_add_f16 v136, v137, v[vgprValuC+24]           // newC = rC + originalC
_buffer_atomic_cmpswap_b32 v[136:137], v134, s[sgprSrdD:sgprSrdD+3] 0 offen offset:0 glc   // attempt write
s_mov_b64 exec, s[64:65]                           // must try again
v_mov_b32 v139, v138                               // dataV+1 = tmp (new original C)
v_pk_add_f16 v138, v139, v[vgprValuC+25]           // newC = rC + originalC
_buffer_atomic_cmpswap_b32 v[138:139], v135, s[sgprSrdD:sgprSrdD+3] 0 offen offset:0 glc   // attempt write
	;; [unrolled: 4-line block ×12, first 2 shown]
s_waitcnt vmcnt(0)                                 // wait for atomic writes

/* apply masks and check for success */
s_mov_b64 exec, s[62:63]                           // must try again
v_cmp_ne_u32 s[58:59], v136, v137                  // c read during atomic != c read during prior load
s_and_b64 s[62:63], s[58:59], s[62:63]             // inBounds & must try again
s_mov_b64 exec, s[64:65]                           // must try again
v_cmp_ne_u32 s[58:59], v138, v139                  // c read during atomic != c read during prior load
s_and_b64 s[64:65], s[58:59], s[64:65]             // inBounds & must try again
	;; [unrolled: 3-line block ×12, first 2 shown]

/* or masks to check for exit */
s_mov_b64 s[58:59], 0x0                            // empty mask
s_or_b64 s[58:59], s[62:63], s[58:59]              // or to add threads
s_or_b64 s[58:59], s[64:65], s[58:59]              // or to add threads
	;; [unrolled: 1-line block ×12, first 2 shown]
s_or_saveexec_b64 s[60:61], s[58:59]               // apply combined mask
s_cbranch_execnz label_0053                        // try again if not complete
label_0054:
s_mov_b64 exec, -1                                 // full mask -> exec
/* optSingleColVgpr=0 optSharedColVgpr=0 optSGPRUsage=None optSrdIncForRow=0 */

/******************************************/
/* Global Write Alpha Edge Batch #3 (d1,d0,vc1,vc0) = */
/*    (1,2,0,0:vw2:vaw:2); (1,2,0,2:vw2:vaw:2); (1,3,0,0:vw2:vaw:2); (1,3,0,2:vw2:vaw:2); (1,0,1,0:vw2:vaw:2); (1,0,1,2:vw2:vaw:2); (1,1,1,0:vw2:vaw:2); (1,1,1,2:vw2:vaw:2); (1,2,1,0:vw2:vaw:2); (1,2,1,2:vw2:vaw:2); (1,3,1,0:vw2:vaw:2); (1,3,1,2:vw2:vaw:2) */
/******************************************/

/* calc coords, apply mask, and issue loads (if necessary) */
/* (d1,vc1,d0,vc0)=(1,0,2,0) */
s_mov_b32 s58, 128                                 // coordOffset0 d0=2 vc0=0
_v_add_co_u32 v132, vcc, v128, s58                 // coord0.2: coord0 += d0*sg0*VW + vc0
v_cmp_lt_u32 s[58:59], v132, s[sgprSizeI]          // coord0 < size0
v_cmp_lt_u32 s[62:63], v129, s[sgprSizeJ]          // coord1 < size1
s_and_b64 s[62:63], s[58:59], s[62:63]             // in0 && in1
_v_add_lshl_u32 v134, v131, v132, 0x1              // scaleToBpe: accumulate d0 lower and *= bpe into Cin addr
v_cndmask_b32 v134, -1, v134, s[62:63]             // LDD clip if OOB. offset
_buffer_load_b32 v137, v134, s[sgprSrdD:sgprSrdD+3], 0, offen offset:0 // load D (atomic) bpm=4 vaw=2
/* (d1,vc1,d0,vc0)=(1,0,2,2) */
s_mov_b32 s58, 130                                 // coordOffset0 d0=2 vc0=2
_v_add_co_u32 v132, vcc, v128, s58                 // coord0.2: coord0 += d0*sg0*VW + vc0
v_cmp_lt_u32 s[58:59], v132, s[sgprSizeI]          // coord0 < size0
v_cmp_lt_u32 s[64:65], v129, s[sgprSizeJ]          // coord1 < size1
s_and_b64 s[64:65], s[58:59], s[64:65]             // in0 && in1
_v_add_lshl_u32 v135, v131, v132, 0x1              // scaleToBpe: accumulate d0 lower and *= bpe into Cin addr
v_cndmask_b32 v135, -1, v135, s[64:65]             // LDD clip if OOB. offset
_buffer_load_b32 v139, v135, s[sgprSrdD:sgprSrdD+3], 0, offen offset:0 // load D (atomic) bpm=4 vaw=2
	;; [unrolled: 9-line block ×4, first 2 shown]
/* (d1,vc1,d0,vc0)=(1,1,0,0) */
_v_add_co_u32 v129, vcc, v129, 1                   // coord1.1: coord1Vgpr += d1*sg1*VW + vc1

/* Fix for UseInitialStridesCD, emitAddressSetupCode */
_v_add_u32 v130, v130, s[sgprStrideC1J]            // ROWINC- Move cinRowPtr to next row
_v_add_u32 v131, v131, s[sgprStrideD1J]            // Move coutRowPtr to next row
v_cmp_lt_u32 s[58:59], v128, s[sgprSizeI]          // coord0 < size0
v_cmp_lt_u32 s[70:71], v129, s[sgprSizeJ]          // coord1 < size1
s_and_b64 s[70:71], s[58:59], s[70:71]             // in0 && in1
_v_add_lshl_u32 v146, v131, v128, 0x1              // scaleToBpe: accumulate d0 lower and *= bpe into Cin addr
v_cndmask_b32 v146, -1, v146, s[70:71]             // LDD clip if OOB. offset
_buffer_load_b32 v149, v146, s[sgprSrdD:sgprSrdD+3], 0, offen offset:0 // load D (atomic) bpm=4 vaw=2
/* (d1,vc1,d0,vc0)=(1,1,0,2) */
_v_add_co_u32 v132, vcc, v128, 2                   // coord0.1: coord0 += d0*sg0*VW + vc0
v_cmp_lt_u32 s[58:59], v132, s[sgprSizeI]          // coord0 < size0
v_cmp_lt_u32 s[72:73], v129, s[sgprSizeJ]          // coord1 < size1
s_and_b64 s[72:73], s[58:59], s[72:73]             // in0 && in1
_v_add_lshl_u32 v147, v131, v132, 0x1              // scaleToBpe: accumulate d0 lower and *= bpe into Cin addr
v_cndmask_b32 v147, -1, v147, s[72:73]             // LDD clip if OOB. offset
_buffer_load_b32 v151, v147, s[sgprSrdD:sgprSrdD+3], 0, offen offset:0 // load D (atomic) bpm=4 vaw=2
/* (d1,vc1,d0,vc0)=(1,1,1,0) */
_v_add_co_u32 v132, vcc, v128, 64                  // coord0.1: coord0 += d0*sg0*VW + vc0
v_cmp_lt_u32 s[58:59], v132, s[sgprSizeI]          // coord0 < size0
v_cmp_lt_u32 s[74:75], v129, s[sgprSizeJ]          // coord1 < size1
s_and_b64 s[74:75], s[58:59], s[74:75]             // in0 && in1
_v_add_lshl_u32 v152, v131, v132, 0x1              // scaleToBpe: accumulate d0 lower and *= bpe into Cin addr
v_cndmask_b32 v152, -1, v152, s[74:75]             // LDD clip if OOB. offset
_buffer_load_b32 v155, v152, s[sgprSrdD:sgprSrdD+3], 0, offen offset:0 // load D (atomic) bpm=4 vaw=2
/* (d1,vc1,d0,vc0)=(1,1,1,2) */
s_mov_b32 s58, 66                                  // coordOffset0 d0=1 vc0=2
_v_add_co_u32 v132, vcc, v128, s58                 // coord0.2: coord0 += d0*sg0*VW + vc0
v_cmp_lt_u32 s[58:59], v132, s[sgprSizeI]          // coord0 < size0
v_cmp_lt_u32 s[76:77], v129, s[sgprSizeJ]          // coord1 < size1
s_and_b64 s[76:77], s[58:59], s[76:77]             // in0 && in1
_v_add_lshl_u32 v153, v131, v132, 0x1              // scaleToBpe: accumulate d0 lower and *= bpe into Cin addr
v_cndmask_b32 v153, -1, v153, s[76:77]             // LDD clip if OOB. offset
_buffer_load_b32 v157, v153, s[sgprSrdD:sgprSrdD+3], 0, offen offset:0 // load D (atomic) bpm=4 vaw=2
/* (d1,vc1,d0,vc0)=(1,1,2,0) */
s_mov_b32 s58, 128                                 // coordOffset0 d0=2 vc0=0
_v_add_co_u32 v132, vcc, v128, s58                 // coord0.2: coord0 += d0*sg0*VW + vc0
v_cmp_lt_u32 s[58:59], v132, s[sgprSizeI]          // coord0 < size0
v_cmp_lt_u32 s[78:79], v129, s[sgprSizeJ]          // coord1 < size1
s_and_b64 s[78:79], s[58:59], s[78:79]             // in0 && in1
_v_add_lshl_u32 v158, v131, v132, 0x1              // scaleToBpe: accumulate d0 lower and *= bpe into Cin addr
v_cndmask_b32 v158, -1, v158, s[78:79]             // LDD clip if OOB. offset
_buffer_load_b32 v161, v158, s[sgprSrdD:sgprSrdD+3], 0, offen offset:0 // load D (atomic) bpm=4 vaw=2
/* (d1,vc1,d0,vc0)=(1,1,2,2) */
s_mov_b32 s58, 130                                 // coordOffset0 d0=2 vc0=2
	;; [unrolled: 9-line block ×4, first 2 shown]
_v_add_co_u32 v132, vcc, v128, s58                 // coord0.2: coord0 += d0*sg0*VW + vc0
v_cmp_lt_u32 s[58:59], v132, s[sgprSizeI]          // coord0 < size0
v_cmp_lt_u32 s[84:85], v129, s[sgprSizeJ]          // coord1 < size1
s_and_b64 s[84:85], s[58:59], s[84:85]             // in0 && in1
_v_add_lshl_u32 v165, v131, v132, 0x1              // scaleToBpe: accumulate d0 lower and *= bpe into Cin addr
v_cndmask_b32 v165, -1, v165, s[84:85]             // LDD clip if OOB. offset
_buffer_load_b32 v169, v165, s[sgprSrdD:sgprSrdD+3], 0, offen offset:0 // load D (atomic) bpm=4 vaw=2

/* rC *= alpha batchElements=[(1, 2, 0, 0), (1, 2, 0, 2), (1, 3, 0, 0), (1, 3, 0, 2), (1, 0, 1, 0), (1, 0, 1, 2), (1, 1, 1, 0), (1, 1, 1, 2), (1, 2, 1, 0), (1, 2, 1, 2), (1, 3, 1, 0), (1, 3, 1, 2)] */
v_pk_mul_f16 v[vgprValuC+36], s[sgprAlpha], v[vgprValuC+36] // *= alpha sumIdx=72 vi=1
v_pk_mul_f16 v[vgprValuC+37], s[sgprAlpha], v[vgprValuC+37] // *= alpha sumIdx=74 vi=1
	;; [unrolled: 1-line block ×12, first 2 shown]
s_waitcnt vmcnt(0)                                 // wait C (atomic)

/* issue first atomic writes */
s_mov_b64 exec, s[62:63]                           // sgprs -> exec (before atomic)
v_pk_add_f16 v136, v137, v[vgprValuC+36]           // desired value
_buffer_atomic_cmpswap_b32 v[136:137], v134, s[sgprSrdD:sgprSrdD+3] 0 offen offset:0 glc   // attempt write
s_mov_b64 exec, s[64:65]                           // sgprs -> exec (before atomic)
v_pk_add_f16 v138, v139, v[vgprValuC+37]           // desired value
_buffer_atomic_cmpswap_b32 v[138:139], v135, s[sgprSrdD:sgprSrdD+3] 0 offen offset:0 glc   // attempt write
	;; [unrolled: 3-line block ×12, first 2 shown]
s_waitcnt vmcnt(0)                                 // wait for atomic writes

/* check success of writes, update masks */
s_mov_b64 exec, s[62:63]                           // sgprs -> exec
v_cmp_ne_u32 s[58:59], v136, v137                  // c read during atomic != c read during prior load
s_and_b64 s[62:63], s[58:59], s[62:63]             // inBounds & must try again
s_mov_b64 exec, s[64:65]                           // sgprs -> exec
v_cmp_ne_u32 s[58:59], v138, v139                  // c read during atomic != c read during prior load
s_and_b64 s[64:65], s[58:59], s[64:65]             // inBounds & must try again
	;; [unrolled: 3-line block ×12, first 2 shown]

/* or masks to check for exit */
s_mov_b64 s[58:59], 0x0                            // empty mask
s_or_b64 s[58:59], s[62:63], s[58:59]              // or to add threads
s_or_b64 s[58:59], s[64:65], s[58:59]              // or to add threads
	;; [unrolled: 1-line block ×12, first 2 shown]
s_or_saveexec_b64 s[60:61], s[58:59]               // apply combined mask
s_cbranch_execz label_0056                         // if exec is zero skip loop

/* atomic CAS loop */
label_0055:

/* apply updated masks and issue writes again */
s_mov_b64 exec, s[62:63]                           // must try again
v_mov_b32 v137, v136                               // dataV+1 = tmp (new original C)
v_pk_add_f16 v136, v137, v[vgprValuC+36]           // newC = rC + originalC
_buffer_atomic_cmpswap_b32 v[136:137], v134, s[sgprSrdD:sgprSrdD+3] 0 offen offset:0 glc   // attempt write
s_mov_b64 exec, s[64:65]                           // must try again
v_mov_b32 v139, v138                               // dataV+1 = tmp (new original C)
v_pk_add_f16 v138, v139, v[vgprValuC+37]           // newC = rC + originalC
_buffer_atomic_cmpswap_b32 v[138:139], v135, s[sgprSrdD:sgprSrdD+3] 0 offen offset:0 glc   // attempt write
	;; [unrolled: 4-line block ×12, first 2 shown]
s_waitcnt vmcnt(0)                                 // wait for atomic writes

/* apply masks and check for success */
s_mov_b64 exec, s[62:63]                           // must try again
v_cmp_ne_u32 s[58:59], v136, v137                  // c read during atomic != c read during prior load
s_and_b64 s[62:63], s[58:59], s[62:63]             // inBounds & must try again
s_mov_b64 exec, s[64:65]                           // must try again
v_cmp_ne_u32 s[58:59], v138, v139                  // c read during atomic != c read during prior load
s_and_b64 s[64:65], s[58:59], s[64:65]             // inBounds & must try again
	;; [unrolled: 3-line block ×12, first 2 shown]

/* or masks to check for exit */
s_mov_b64 s[58:59], 0x0                            // empty mask
s_or_b64 s[58:59], s[62:63], s[58:59]              // or to add threads
s_or_b64 s[58:59], s[64:65], s[58:59]              // or to add threads
	;; [unrolled: 1-line block ×12, first 2 shown]
s_or_saveexec_b64 s[60:61], s[58:59]               // apply combined mask
s_cbranch_execnz label_0055                        // try again if not complete
label_0056:
s_mov_b64 exec, -1                                 // full mask -> exec
/* optSingleColVgpr=0 optSharedColVgpr=0 optSGPRUsage=None optSrdIncForRow=0 */

/******************************************/
/* Global Write Alpha Edge Batch #4 (d1,d0,vc1,vc0) = */
/*    (1,0,2,0:vw2:vaw:2); (1,0,2,2:vw2:vaw:2); (1,1,2,0:vw2:vaw:2); (1,1,2,2:vw2:vaw:2); (1,2,2,0:vw2:vaw:2); (1,2,2,2:vw2:vaw:2); (1,3,2,0:vw2:vaw:2); (1,3,2,2:vw2:vaw:2); (1,0,3,0:vw2:vaw:2); (1,0,3,2:vw2:vaw:2); (1,1,3,0:vw2:vaw:2); (1,1,3,2:vw2:vaw:2) */
/******************************************/

/* calc coords, apply mask, and issue loads (if necessary) */
/* (d1,vc1,d0,vc0)=(1,2,0,0) */
_v_add_co_u32 v129, vcc, v129, 1                   // coord1.1: coord1Vgpr += d1*sg1*VW + vc1

/* Fix for UseInitialStridesCD, emitAddressSetupCode */
_v_add_u32 v130, v130, s[sgprStrideC1J]            // ROWINC- Move cinRowPtr to next row
_v_add_u32 v131, v131, s[sgprStrideD1J]            // Move coutRowPtr to next row
v_cmp_lt_u32 s[58:59], v128, s[sgprSizeI]          // coord0 < size0
v_cmp_lt_u32 s[62:63], v129, s[sgprSizeJ]          // coord1 < size1
s_and_b64 s[62:63], s[58:59], s[62:63]             // in0 && in1
_v_add_lshl_u32 v134, v131, v128, 0x1              // scaleToBpe: accumulate d0 lower and *= bpe into Cin addr
v_cndmask_b32 v134, -1, v134, s[62:63]             // LDD clip if OOB. offset
_buffer_load_b32 v137, v134, s[sgprSrdD:sgprSrdD+3], 0, offen offset:0 // load D (atomic) bpm=4 vaw=2
/* (d1,vc1,d0,vc0)=(1,2,0,2) */
_v_add_co_u32 v132, vcc, v128, 2                   // coord0.1: coord0 += d0*sg0*VW + vc0
v_cmp_lt_u32 s[58:59], v132, s[sgprSizeI]          // coord0 < size0
v_cmp_lt_u32 s[64:65], v129, s[sgprSizeJ]          // coord1 < size1
s_and_b64 s[64:65], s[58:59], s[64:65]             // in0 && in1
_v_add_lshl_u32 v135, v131, v132, 0x1              // scaleToBpe: accumulate d0 lower and *= bpe into Cin addr
v_cndmask_b32 v135, -1, v135, s[64:65]             // LDD clip if OOB. offset
_buffer_load_b32 v139, v135, s[sgprSrdD:sgprSrdD+3], 0, offen offset:0 // load D (atomic) bpm=4 vaw=2
/* (d1,vc1,d0,vc0)=(1,2,1,0) */
_v_add_co_u32 v132, vcc, v128, 64                  // coord0.1: coord0 += d0*sg0*VW + vc0
v_cmp_lt_u32 s[58:59], v132, s[sgprSizeI]          // coord0 < size0
v_cmp_lt_u32 s[66:67], v129, s[sgprSizeJ]          // coord1 < size1
s_and_b64 s[66:67], s[58:59], s[66:67]             // in0 && in1
_v_add_lshl_u32 v140, v131, v132, 0x1              // scaleToBpe: accumulate d0 lower and *= bpe into Cin addr
v_cndmask_b32 v140, -1, v140, s[66:67]             // LDD clip if OOB. offset
_buffer_load_b32 v143, v140, s[sgprSrdD:sgprSrdD+3], 0, offen offset:0 // load D (atomic) bpm=4 vaw=2
/* (d1,vc1,d0,vc0)=(1,2,1,2) */
s_mov_b32 s58, 66                                  // coordOffset0 d0=1 vc0=2
_v_add_co_u32 v132, vcc, v128, s58                 // coord0.2: coord0 += d0*sg0*VW + vc0
v_cmp_lt_u32 s[58:59], v132, s[sgprSizeI]          // coord0 < size0
v_cmp_lt_u32 s[68:69], v129, s[sgprSizeJ]          // coord1 < size1
s_and_b64 s[68:69], s[58:59], s[68:69]             // in0 && in1
_v_add_lshl_u32 v141, v131, v132, 0x1              // scaleToBpe: accumulate d0 lower and *= bpe into Cin addr
v_cndmask_b32 v141, -1, v141, s[68:69]             // LDD clip if OOB. offset
_buffer_load_b32 v145, v141, s[sgprSrdD:sgprSrdD+3], 0, offen offset:0 // load D (atomic) bpm=4 vaw=2
/* (d1,vc1,d0,vc0)=(1,2,2,0) */
s_mov_b32 s58, 128                                 // coordOffset0 d0=2 vc0=0
_v_add_co_u32 v132, vcc, v128, s58                 // coord0.2: coord0 += d0*sg0*VW + vc0
v_cmp_lt_u32 s[58:59], v132, s[sgprSizeI]          // coord0 < size0
v_cmp_lt_u32 s[70:71], v129, s[sgprSizeJ]          // coord1 < size1
s_and_b64 s[70:71], s[58:59], s[70:71]             // in0 && in1
_v_add_lshl_u32 v146, v131, v132, 0x1              // scaleToBpe: accumulate d0 lower and *= bpe into Cin addr
v_cndmask_b32 v146, -1, v146, s[70:71]             // LDD clip if OOB. offset
_buffer_load_b32 v149, v146, s[sgprSrdD:sgprSrdD+3], 0, offen offset:0 // load D (atomic) bpm=4 vaw=2
/* (d1,vc1,d0,vc0)=(1,2,2,2) */
s_mov_b32 s58, 130                                 // coordOffset0 d0=2 vc0=2
	;; [unrolled: 9-line block ×4, first 2 shown]
_v_add_co_u32 v132, vcc, v128, s58                 // coord0.2: coord0 += d0*sg0*VW + vc0
v_cmp_lt_u32 s[58:59], v132, s[sgprSizeI]          // coord0 < size0
v_cmp_lt_u32 s[76:77], v129, s[sgprSizeJ]          // coord1 < size1
s_and_b64 s[76:77], s[58:59], s[76:77]             // in0 && in1
_v_add_lshl_u32 v153, v131, v132, 0x1              // scaleToBpe: accumulate d0 lower and *= bpe into Cin addr
v_cndmask_b32 v153, -1, v153, s[76:77]             // LDD clip if OOB. offset
_buffer_load_b32 v157, v153, s[sgprSrdD:sgprSrdD+3], 0, offen offset:0 // load D (atomic) bpm=4 vaw=2
/* (d1,vc1,d0,vc0)=(1,3,0,0) */
_v_add_co_u32 v129, vcc, v129, 1                   // coord1.1: coord1Vgpr += d1*sg1*VW + vc1

/* Fix for UseInitialStridesCD, emitAddressSetupCode */
_v_add_u32 v130, v130, s[sgprStrideC1J]            // ROWINC- Move cinRowPtr to next row
_v_add_u32 v131, v131, s[sgprStrideD1J]            // Move coutRowPtr to next row
v_cmp_lt_u32 s[58:59], v128, s[sgprSizeI]          // coord0 < size0
v_cmp_lt_u32 s[78:79], v129, s[sgprSizeJ]          // coord1 < size1
s_and_b64 s[78:79], s[58:59], s[78:79]             // in0 && in1
_v_add_lshl_u32 v158, v131, v128, 0x1              // scaleToBpe: accumulate d0 lower and *= bpe into Cin addr
v_cndmask_b32 v158, -1, v158, s[78:79]             // LDD clip if OOB. offset
_buffer_load_b32 v161, v158, s[sgprSrdD:sgprSrdD+3], 0, offen offset:0 // load D (atomic) bpm=4 vaw=2
/* (d1,vc1,d0,vc0)=(1,3,0,2) */
_v_add_co_u32 v132, vcc, v128, 2                   // coord0.1: coord0 += d0*sg0*VW + vc0
v_cmp_lt_u32 s[58:59], v132, s[sgprSizeI]          // coord0 < size0
v_cmp_lt_u32 s[80:81], v129, s[sgprSizeJ]          // coord1 < size1
s_and_b64 s[80:81], s[58:59], s[80:81]             // in0 && in1
_v_add_lshl_u32 v159, v131, v132, 0x1              // scaleToBpe: accumulate d0 lower and *= bpe into Cin addr
v_cndmask_b32 v159, -1, v159, s[80:81]             // LDD clip if OOB. offset
_buffer_load_b32 v163, v159, s[sgprSrdD:sgprSrdD+3], 0, offen offset:0 // load D (atomic) bpm=4 vaw=2
/* (d1,vc1,d0,vc0)=(1,3,1,0) */
_v_add_co_u32 v132, vcc, v128, 64                  // coord0.1: coord0 += d0*sg0*VW + vc0
v_cmp_lt_u32 s[58:59], v132, s[sgprSizeI]          // coord0 < size0
v_cmp_lt_u32 s[82:83], v129, s[sgprSizeJ]          // coord1 < size1
s_and_b64 s[82:83], s[58:59], s[82:83]             // in0 && in1
_v_add_lshl_u32 v164, v131, v132, 0x1              // scaleToBpe: accumulate d0 lower and *= bpe into Cin addr
v_cndmask_b32 v164, -1, v164, s[82:83]             // LDD clip if OOB. offset
_buffer_load_b32 v167, v164, s[sgprSrdD:sgprSrdD+3], 0, offen offset:0 // load D (atomic) bpm=4 vaw=2
/* (d1,vc1,d0,vc0)=(1,3,1,2) */
s_mov_b32 s58, 66                                  // coordOffset0 d0=1 vc0=2
_v_add_co_u32 v132, vcc, v128, s58                 // coord0.2: coord0 += d0*sg0*VW + vc0
v_cmp_lt_u32 s[58:59], v132, s[sgprSizeI]          // coord0 < size0
v_cmp_lt_u32 s[84:85], v129, s[sgprSizeJ]          // coord1 < size1
s_and_b64 s[84:85], s[58:59], s[84:85]             // in0 && in1
_v_add_lshl_u32 v165, v131, v132, 0x1              // scaleToBpe: accumulate d0 lower and *= bpe into Cin addr
v_cndmask_b32 v165, -1, v165, s[84:85]             // LDD clip if OOB. offset
_buffer_load_b32 v169, v165, s[sgprSrdD:sgprSrdD+3], 0, offen offset:0 // load D (atomic) bpm=4 vaw=2

/* rC *= alpha batchElements=[(1, 0, 2, 0), (1, 0, 2, 2), (1, 1, 2, 0), (1, 1, 2, 2), (1, 2, 2, 0), (1, 2, 2, 2), (1, 3, 2, 0), (1, 3, 2, 2), (1, 0, 3, 0), (1, 0, 3, 2), (1, 1, 3, 0), (1, 1, 3, 2)] */
v_pk_mul_f16 v[vgprValuC+48], s[sgprAlpha], v[vgprValuC+48] // *= alpha sumIdx=96 vi=1
v_pk_mul_f16 v[vgprValuC+49], s[sgprAlpha], v[vgprValuC+49] // *= alpha sumIdx=98 vi=1
	;; [unrolled: 1-line block ×12, first 2 shown]
s_waitcnt vmcnt(0)                                 // wait C (atomic)

/* issue first atomic writes */
s_mov_b64 exec, s[62:63]                           // sgprs -> exec (before atomic)
v_pk_add_f16 v136, v137, v[vgprValuC+48]           // desired value
_buffer_atomic_cmpswap_b32 v[136:137], v134, s[sgprSrdD:sgprSrdD+3] 0 offen offset:0 glc   // attempt write
s_mov_b64 exec, s[64:65]                           // sgprs -> exec (before atomic)
v_pk_add_f16 v138, v139, v[vgprValuC+49]           // desired value
_buffer_atomic_cmpswap_b32 v[138:139], v135, s[sgprSrdD:sgprSrdD+3] 0 offen offset:0 glc   // attempt write
	;; [unrolled: 3-line block ×12, first 2 shown]
s_waitcnt vmcnt(0)                                 // wait for atomic writes

/* check success of writes, update masks */
s_mov_b64 exec, s[62:63]                           // sgprs -> exec
v_cmp_ne_u32 s[58:59], v136, v137                  // c read during atomic != c read during prior load
s_and_b64 s[62:63], s[58:59], s[62:63]             // inBounds & must try again
s_mov_b64 exec, s[64:65]                           // sgprs -> exec
v_cmp_ne_u32 s[58:59], v138, v139                  // c read during atomic != c read during prior load
s_and_b64 s[64:65], s[58:59], s[64:65]             // inBounds & must try again
	;; [unrolled: 3-line block ×12, first 2 shown]

/* or masks to check for exit */
s_mov_b64 s[58:59], 0x0                            // empty mask
s_or_b64 s[58:59], s[62:63], s[58:59]              // or to add threads
s_or_b64 s[58:59], s[64:65], s[58:59]              // or to add threads
	;; [unrolled: 1-line block ×12, first 2 shown]
s_or_saveexec_b64 s[60:61], s[58:59]               // apply combined mask
s_cbranch_execz label_0058                         // if exec is zero skip loop

/* atomic CAS loop */
label_0057:

/* apply updated masks and issue writes again */
s_mov_b64 exec, s[62:63]                           // must try again
v_mov_b32 v137, v136                               // dataV+1 = tmp (new original C)
v_pk_add_f16 v136, v137, v[vgprValuC+48]           // newC = rC + originalC
_buffer_atomic_cmpswap_b32 v[136:137], v134, s[sgprSrdD:sgprSrdD+3] 0 offen offset:0 glc   // attempt write
s_mov_b64 exec, s[64:65]                           // must try again
v_mov_b32 v139, v138                               // dataV+1 = tmp (new original C)
v_pk_add_f16 v138, v139, v[vgprValuC+49]           // newC = rC + originalC
_buffer_atomic_cmpswap_b32 v[138:139], v135, s[sgprSrdD:sgprSrdD+3] 0 offen offset:0 glc   // attempt write
s_mov_b64 exec, s[66:67]                           // must try again
v_mov_b32 v143, v142                               // dataV+1 = tmp (new original C)
v_pk_add_f16 v142, v143, v[vgprValuC+50]           // newC = rC + originalC
_buffer_atomic_cmpswap_b32 v[142:143], v140, s[sgprSrdD:sgprSrdD+3] 0 offen offset:0 glc   // attempt write
s_mov_b64 exec, s[68:69]                           // must try again
v_mov_b32 v145, v144                               // dataV+1 = tmp (new original C)
v_pk_add_f16 v144, v145, v[vgprValuC+51]           // newC = rC + originalC
_buffer_atomic_cmpswap_b32 v[144:145], v141, s[sgprSrdD:sgprSrdD+3] 0 offen offset:0 glc   // attempt write
s_mov_b64 exec, s[70:71]                           // must try again
v_mov_b32 v149, v148                               // dataV+1 = tmp (new original C)
v_pk_add_f16 v148, v149, v[vgprValuC+52]           // newC = rC + originalC
_buffer_atomic_cmpswap_b32 v[148:149], v146, s[sgprSrdD:sgprSrdD+3] 0 offen offset:0 glc   // attempt write
s_mov_b64 exec, s[72:73]                           // must try again
v_mov_b32 v151, v150                               // dataV+1 = tmp (new original C)
v_pk_add_f16 v150, v151, v[vgprValuC+53]           // newC = rC + originalC
_buffer_atomic_cmpswap_b32 v[150:151], v147, s[sgprSrdD:sgprSrdD+3] 0 offen offset:0 glc   // attempt write
s_mov_b64 exec, s[74:75]                           // must try again
v_mov_b32 v155, v154                               // dataV+1 = tmp (new original C)
v_pk_add_f16 v154, v155, v[vgprValuC+54]           // newC = rC + originalC
_buffer_atomic_cmpswap_b32 v[154:155], v152, s[sgprSrdD:sgprSrdD+3] 0 offen offset:0 glc   // attempt write
s_mov_b64 exec, s[76:77]                           // must try again
v_mov_b32 v157, v156                               // dataV+1 = tmp (new original C)
v_pk_add_f16 v156, v157, v[vgprValuC+55]           // newC = rC + originalC
_buffer_atomic_cmpswap_b32 v[156:157], v153, s[sgprSrdD:sgprSrdD+3] 0 offen offset:0 glc   // attempt write
s_mov_b64 exec, s[78:79]                           // must try again
v_mov_b32 v161, v160                               // dataV+1 = tmp (new original C)
v_pk_add_f16 v160, v161, v[vgprValuC+56]           // newC = rC + originalC
_buffer_atomic_cmpswap_b32 v[160:161], v158, s[sgprSrdD:sgprSrdD+3] 0 offen offset:0 glc   // attempt write
s_mov_b64 exec, s[80:81]                           // must try again
v_mov_b32 v163, v162                               // dataV+1 = tmp (new original C)
v_pk_add_f16 v162, v163, v[vgprValuC+57]           // newC = rC + originalC
_buffer_atomic_cmpswap_b32 v[162:163], v159, s[sgprSrdD:sgprSrdD+3] 0 offen offset:0 glc   // attempt write
s_mov_b64 exec, s[82:83]                           // must try again
v_mov_b32 v167, v166                               // dataV+1 = tmp (new original C)
v_pk_add_f16 v166, v167, v[vgprValuC+58]           // newC = rC + originalC
_buffer_atomic_cmpswap_b32 v[166:167], v164, s[sgprSrdD:sgprSrdD+3] 0 offen offset:0 glc   // attempt write
s_mov_b64 exec, s[84:85]                           // must try again
v_mov_b32 v169, v168                               // dataV+1 = tmp (new original C)
v_pk_add_f16 v168, v169, v[vgprValuC+59]           // newC = rC + originalC
_buffer_atomic_cmpswap_b32 v[168:169], v165, s[sgprSrdD:sgprSrdD+3] 0 offen offset:0 glc   // attempt write
s_waitcnt vmcnt(0)                                 // wait for atomic writes

/* apply masks and check for success */
s_mov_b64 exec, s[62:63]                           // must try again
v_cmp_ne_u32 s[58:59], v136, v137                  // c read during atomic != c read during prior load
s_and_b64 s[62:63], s[58:59], s[62:63]             // inBounds & must try again
s_mov_b64 exec, s[64:65]                           // must try again
v_cmp_ne_u32 s[58:59], v138, v139                  // c read during atomic != c read during prior load
s_and_b64 s[64:65], s[58:59], s[64:65]             // inBounds & must try again
s_mov_b64 exec, s[66:67]                           // must try again
v_cmp_ne_u32 s[58:59], v142, v143                  // c read during atomic != c read during prior load
s_and_b64 s[66:67], s[58:59], s[66:67]             // inBounds & must try again
s_mov_b64 exec, s[68:69]                           // must try again
v_cmp_ne_u32 s[58:59], v144, v145                  // c read during atomic != c read during prior load
s_and_b64 s[68:69], s[58:59], s[68:69]             // inBounds & must try again
s_mov_b64 exec, s[70:71]                           // must try again
v_cmp_ne_u32 s[58:59], v148, v149                  // c read during atomic != c read during prior load
s_and_b64 s[70:71], s[58:59], s[70:71]             // inBounds & must try again
s_mov_b64 exec, s[72:73]                           // must try again
v_cmp_ne_u32 s[58:59], v150, v151                  // c read during atomic != c read during prior load
s_and_b64 s[72:73], s[58:59], s[72:73]             // inBounds & must try again
s_mov_b64 exec, s[74:75]                           // must try again
v_cmp_ne_u32 s[58:59], v154, v155                  // c read during atomic != c read during prior load
s_and_b64 s[74:75], s[58:59], s[74:75]             // inBounds & must try again
s_mov_b64 exec, s[76:77]                           // must try again
v_cmp_ne_u32 s[58:59], v156, v157                  // c read during atomic != c read during prior load
s_and_b64 s[76:77], s[58:59], s[76:77]             // inBounds & must try again
s_mov_b64 exec, s[78:79]                           // must try again
v_cmp_ne_u32 s[58:59], v160, v161                  // c read during atomic != c read during prior load
s_and_b64 s[78:79], s[58:59], s[78:79]             // inBounds & must try again
s_mov_b64 exec, s[80:81]                           // must try again
v_cmp_ne_u32 s[58:59], v162, v163                  // c read during atomic != c read during prior load
s_and_b64 s[80:81], s[58:59], s[80:81]             // inBounds & must try again
s_mov_b64 exec, s[82:83]                           // must try again
v_cmp_ne_u32 s[58:59], v166, v167                  // c read during atomic != c read during prior load
s_and_b64 s[82:83], s[58:59], s[82:83]             // inBounds & must try again
s_mov_b64 exec, s[84:85]                           // must try again
v_cmp_ne_u32 s[58:59], v168, v169                  // c read during atomic != c read during prior load
s_and_b64 s[84:85], s[58:59], s[84:85]             // inBounds & must try again

/* or masks to check for exit */
s_mov_b64 s[58:59], 0x0                            // empty mask
s_or_b64 s[58:59], s[62:63], s[58:59]              // or to add threads
s_or_b64 s[58:59], s[64:65], s[58:59]              // or to add threads
	;; [unrolled: 1-line block ×12, first 2 shown]
s_or_saveexec_b64 s[60:61], s[58:59]               // apply combined mask
s_cbranch_execnz label_0057                        // try again if not complete
label_0058:
s_mov_b64 exec, -1                                 // full mask -> exec
/* optSingleColVgpr=0 optSharedColVgpr=0 optSGPRUsage=None optSrdIncForRow=0 */

/******************************************/
/* Global Write Alpha Edge Batch #5 (d1,d0,vc1,vc0) = */
/*    (1,2,3,0:vw2:vaw:2); (1,2,3,2:vw2:vaw:2); (1,3,3,0:vw2:vaw:2); (1,3,3,2:vw2:vaw:2); (2,0,0,0:vw2:vaw:2); (2,0,0,2:vw2:vaw:2); (2,1,0,0:vw2:vaw:2); (2,1,0,2:vw2:vaw:2); (2,2,0,0:vw2:vaw:2); (2,2,0,2:vw2:vaw:2); (2,3,0,0:vw2:vaw:2); (2,3,0,2:vw2:vaw:2) */
/******************************************/

/* calc coords, apply mask, and issue loads (if necessary) */
/* (d1,vc1,d0,vc0)=(1,3,2,0) */
s_mov_b32 s58, 128                                 // coordOffset0 d0=2 vc0=0
_v_add_co_u32 v132, vcc, v128, s58                 // coord0.2: coord0 += d0*sg0*VW + vc0
v_cmp_lt_u32 s[58:59], v132, s[sgprSizeI]          // coord0 < size0
v_cmp_lt_u32 s[62:63], v129, s[sgprSizeJ]          // coord1 < size1
s_and_b64 s[62:63], s[58:59], s[62:63]             // in0 && in1
_v_add_lshl_u32 v134, v131, v132, 0x1              // scaleToBpe: accumulate d0 lower and *= bpe into Cin addr
v_cndmask_b32 v134, -1, v134, s[62:63]             // LDD clip if OOB. offset
_buffer_load_b32 v137, v134, s[sgprSrdD:sgprSrdD+3], 0, offen offset:0 // load D (atomic) bpm=4 vaw=2
/* (d1,vc1,d0,vc0)=(1,3,2,2) */
s_mov_b32 s58, 130                                 // coordOffset0 d0=2 vc0=2
_v_add_co_u32 v132, vcc, v128, s58                 // coord0.2: coord0 += d0*sg0*VW + vc0
v_cmp_lt_u32 s[58:59], v132, s[sgprSizeI]          // coord0 < size0
v_cmp_lt_u32 s[64:65], v129, s[sgprSizeJ]          // coord1 < size1
s_and_b64 s[64:65], s[58:59], s[64:65]             // in0 && in1
_v_add_lshl_u32 v135, v131, v132, 0x1              // scaleToBpe: accumulate d0 lower and *= bpe into Cin addr
v_cndmask_b32 v135, -1, v135, s[64:65]             // LDD clip if OOB. offset
_buffer_load_b32 v139, v135, s[sgprSrdD:sgprSrdD+3], 0, offen offset:0 // load D (atomic) bpm=4 vaw=2
	;; [unrolled: 9-line block ×4, first 2 shown]
/* (d1,vc1,d0,vc0)=(2,0,0,0) */
_v_add_co_u32 v129, vcc, v129, 61                  // coord1.1: coord1Vgpr += d1*sg1*VW + vc1

/* Fix for UseInitialStridesCD, emitAddressSetupCode */
s_mul_i32 s58, s[sgprStrideC1J], 61                // scale stride
_v_add_u32 v130, v130, s58                         // ROWINC- Move cinRowPtr to next row
s_mul_i32 s58, s[sgprStrideD1J], 61                // scale stride
_v_add_u32 v131, v131, s58                         // Move coutRowPtr to next row
v_cmp_lt_u32 s[58:59], v128, s[sgprSizeI]          // coord0 < size0
v_cmp_lt_u32 s[70:71], v129, s[sgprSizeJ]          // coord1 < size1
s_and_b64 s[70:71], s[58:59], s[70:71]             // in0 && in1
_v_add_lshl_u32 v146, v131, v128, 0x1              // scaleToBpe: accumulate d0 lower and *= bpe into Cin addr
v_cndmask_b32 v146, -1, v146, s[70:71]             // LDD clip if OOB. offset
_buffer_load_b32 v149, v146, s[sgprSrdD:sgprSrdD+3], 0, offen offset:0 // load D (atomic) bpm=4 vaw=2
/* (d1,vc1,d0,vc0)=(2,0,0,2) */
_v_add_co_u32 v132, vcc, v128, 2                   // coord0.1: coord0 += d0*sg0*VW + vc0
v_cmp_lt_u32 s[58:59], v132, s[sgprSizeI]          // coord0 < size0
v_cmp_lt_u32 s[72:73], v129, s[sgprSizeJ]          // coord1 < size1
s_and_b64 s[72:73], s[58:59], s[72:73]             // in0 && in1
_v_add_lshl_u32 v147, v131, v132, 0x1              // scaleToBpe: accumulate d0 lower and *= bpe into Cin addr
v_cndmask_b32 v147, -1, v147, s[72:73]             // LDD clip if OOB. offset
_buffer_load_b32 v151, v147, s[sgprSrdD:sgprSrdD+3], 0, offen offset:0 // load D (atomic) bpm=4 vaw=2
/* (d1,vc1,d0,vc0)=(2,0,1,0) */
_v_add_co_u32 v132, vcc, v128, 64                  // coord0.1: coord0 += d0*sg0*VW + vc0
v_cmp_lt_u32 s[58:59], v132, s[sgprSizeI]          // coord0 < size0
v_cmp_lt_u32 s[74:75], v129, s[sgprSizeJ]          // coord1 < size1
s_and_b64 s[74:75], s[58:59], s[74:75]             // in0 && in1
_v_add_lshl_u32 v152, v131, v132, 0x1              // scaleToBpe: accumulate d0 lower and *= bpe into Cin addr
v_cndmask_b32 v152, -1, v152, s[74:75]             // LDD clip if OOB. offset
_buffer_load_b32 v155, v152, s[sgprSrdD:sgprSrdD+3], 0, offen offset:0 // load D (atomic) bpm=4 vaw=2
/* (d1,vc1,d0,vc0)=(2,0,1,2) */
s_mov_b32 s58, 66                                  // coordOffset0 d0=1 vc0=2
_v_add_co_u32 v132, vcc, v128, s58                 // coord0.2: coord0 += d0*sg0*VW + vc0
v_cmp_lt_u32 s[58:59], v132, s[sgprSizeI]          // coord0 < size0
v_cmp_lt_u32 s[76:77], v129, s[sgprSizeJ]          // coord1 < size1
s_and_b64 s[76:77], s[58:59], s[76:77]             // in0 && in1
_v_add_lshl_u32 v153, v131, v132, 0x1              // scaleToBpe: accumulate d0 lower and *= bpe into Cin addr
v_cndmask_b32 v153, -1, v153, s[76:77]             // LDD clip if OOB. offset
_buffer_load_b32 v157, v153, s[sgprSrdD:sgprSrdD+3], 0, offen offset:0 // load D (atomic) bpm=4 vaw=2
/* (d1,vc1,d0,vc0)=(2,0,2,0) */
s_mov_b32 s58, 128                                 // coordOffset0 d0=2 vc0=0
_v_add_co_u32 v132, vcc, v128, s58                 // coord0.2: coord0 += d0*sg0*VW + vc0
v_cmp_lt_u32 s[58:59], v132, s[sgprSizeI]          // coord0 < size0
v_cmp_lt_u32 s[78:79], v129, s[sgprSizeJ]          // coord1 < size1
s_and_b64 s[78:79], s[58:59], s[78:79]             // in0 && in1
_v_add_lshl_u32 v158, v131, v132, 0x1              // scaleToBpe: accumulate d0 lower and *= bpe into Cin addr
v_cndmask_b32 v158, -1, v158, s[78:79]             // LDD clip if OOB. offset
_buffer_load_b32 v161, v158, s[sgprSrdD:sgprSrdD+3], 0, offen offset:0 // load D (atomic) bpm=4 vaw=2
/* (d1,vc1,d0,vc0)=(2,0,2,2) */
s_mov_b32 s58, 130                                 // coordOffset0 d0=2 vc0=2
	;; [unrolled: 9-line block ×4, first 2 shown]
_v_add_co_u32 v132, vcc, v128, s58                 // coord0.2: coord0 += d0*sg0*VW + vc0
v_cmp_lt_u32 s[58:59], v132, s[sgprSizeI]          // coord0 < size0
v_cmp_lt_u32 s[84:85], v129, s[sgprSizeJ]          // coord1 < size1
s_and_b64 s[84:85], s[58:59], s[84:85]             // in0 && in1
_v_add_lshl_u32 v165, v131, v132, 0x1              // scaleToBpe: accumulate d0 lower and *= bpe into Cin addr
v_cndmask_b32 v165, -1, v165, s[84:85]             // LDD clip if OOB. offset
_buffer_load_b32 v169, v165, s[sgprSrdD:sgprSrdD+3], 0, offen offset:0 // load D (atomic) bpm=4 vaw=2

/* rC *= alpha batchElements=[(1, 2, 3, 0), (1, 2, 3, 2), (1, 3, 3, 0), (1, 3, 3, 2), (2, 0, 0, 0), (2, 0, 0, 2), (2, 1, 0, 0), (2, 1, 0, 2), (2, 2, 0, 0), (2, 2, 0, 2), (2, 3, 0, 0), (2, 3, 0, 2)] */
v_pk_mul_f16 v[vgprValuC+60], s[sgprAlpha], v[vgprValuC+60] // *= alpha sumIdx=120 vi=1
v_pk_mul_f16 v[vgprValuC+61], s[sgprAlpha], v[vgprValuC+61] // *= alpha sumIdx=122 vi=1
	;; [unrolled: 1-line block ×12, first 2 shown]
s_waitcnt vmcnt(0)                                 // wait C (atomic)

/* issue first atomic writes */
s_mov_b64 exec, s[62:63]                           // sgprs -> exec (before atomic)
v_pk_add_f16 v136, v137, v[vgprValuC+60]           // desired value
_buffer_atomic_cmpswap_b32 v[136:137], v134, s[sgprSrdD:sgprSrdD+3] 0 offen offset:0 glc   // attempt write
s_mov_b64 exec, s[64:65]                           // sgprs -> exec (before atomic)
v_pk_add_f16 v138, v139, v[vgprValuC+61]           // desired value
_buffer_atomic_cmpswap_b32 v[138:139], v135, s[sgprSrdD:sgprSrdD+3] 0 offen offset:0 glc   // attempt write
	;; [unrolled: 3-line block ×12, first 2 shown]
s_waitcnt vmcnt(0)                                 // wait for atomic writes

/* check success of writes, update masks */
s_mov_b64 exec, s[62:63]                           // sgprs -> exec
v_cmp_ne_u32 s[58:59], v136, v137                  // c read during atomic != c read during prior load
s_and_b64 s[62:63], s[58:59], s[62:63]             // inBounds & must try again
s_mov_b64 exec, s[64:65]                           // sgprs -> exec
v_cmp_ne_u32 s[58:59], v138, v139                  // c read during atomic != c read during prior load
s_and_b64 s[64:65], s[58:59], s[64:65]             // inBounds & must try again
	;; [unrolled: 3-line block ×12, first 2 shown]

/* or masks to check for exit */
s_mov_b64 s[58:59], 0x0                            // empty mask
s_or_b64 s[58:59], s[62:63], s[58:59]              // or to add threads
s_or_b64 s[58:59], s[64:65], s[58:59]              // or to add threads
	;; [unrolled: 1-line block ×12, first 2 shown]
s_or_saveexec_b64 s[60:61], s[58:59]               // apply combined mask
s_cbranch_execz label_0060                         // if exec is zero skip loop

/* atomic CAS loop */
label_0059:

/* apply updated masks and issue writes again */
s_mov_b64 exec, s[62:63]                           // must try again
v_mov_b32 v137, v136                               // dataV+1 = tmp (new original C)
v_pk_add_f16 v136, v137, v[vgprValuC+60]           // newC = rC + originalC
_buffer_atomic_cmpswap_b32 v[136:137], v134, s[sgprSrdD:sgprSrdD+3] 0 offen offset:0 glc   // attempt write
s_mov_b64 exec, s[64:65]                           // must try again
v_mov_b32 v139, v138                               // dataV+1 = tmp (new original C)
v_pk_add_f16 v138, v139, v[vgprValuC+61]           // newC = rC + originalC
_buffer_atomic_cmpswap_b32 v[138:139], v135, s[sgprSrdD:sgprSrdD+3] 0 offen offset:0 glc   // attempt write
s_mov_b64 exec, s[66:67]                           // must try again
v_mov_b32 v143, v142                               // dataV+1 = tmp (new original C)
v_pk_add_f16 v142, v143, v[vgprValuC+62]           // newC = rC + originalC
_buffer_atomic_cmpswap_b32 v[142:143], v140, s[sgprSrdD:sgprSrdD+3] 0 offen offset:0 glc   // attempt write
s_mov_b64 exec, s[68:69]                           // must try again
v_mov_b32 v145, v144                               // dataV+1 = tmp (new original C)
v_pk_add_f16 v144, v145, v[vgprValuC+63]           // newC = rC + originalC
_buffer_atomic_cmpswap_b32 v[144:145], v141, s[sgprSrdD:sgprSrdD+3] 0 offen offset:0 glc   // attempt write
s_mov_b64 exec, s[70:71]                           // must try again
v_mov_b32 v149, v148                               // dataV+1 = tmp (new original C)
v_pk_add_f16 v148, v149, v[vgprValuC+64]           // newC = rC + originalC
_buffer_atomic_cmpswap_b32 v[148:149], v146, s[sgprSrdD:sgprSrdD+3] 0 offen offset:0 glc   // attempt write
s_mov_b64 exec, s[72:73]                           // must try again
v_mov_b32 v151, v150                               // dataV+1 = tmp (new original C)
v_pk_add_f16 v150, v151, v[vgprValuC+65]           // newC = rC + originalC
_buffer_atomic_cmpswap_b32 v[150:151], v147, s[sgprSrdD:sgprSrdD+3] 0 offen offset:0 glc   // attempt write
s_mov_b64 exec, s[74:75]                           // must try again
v_mov_b32 v155, v154                               // dataV+1 = tmp (new original C)
v_pk_add_f16 v154, v155, v[vgprValuC+66]           // newC = rC + originalC
_buffer_atomic_cmpswap_b32 v[154:155], v152, s[sgprSrdD:sgprSrdD+3] 0 offen offset:0 glc   // attempt write
s_mov_b64 exec, s[76:77]                           // must try again
v_mov_b32 v157, v156                               // dataV+1 = tmp (new original C)
v_pk_add_f16 v156, v157, v[vgprValuC+67]           // newC = rC + originalC
_buffer_atomic_cmpswap_b32 v[156:157], v153, s[sgprSrdD:sgprSrdD+3] 0 offen offset:0 glc   // attempt write
s_mov_b64 exec, s[78:79]                           // must try again
v_mov_b32 v161, v160                               // dataV+1 = tmp (new original C)
v_pk_add_f16 v160, v161, v[vgprValuC+68]           // newC = rC + originalC
_buffer_atomic_cmpswap_b32 v[160:161], v158, s[sgprSrdD:sgprSrdD+3] 0 offen offset:0 glc   // attempt write
s_mov_b64 exec, s[80:81]                           // must try again
v_mov_b32 v163, v162                               // dataV+1 = tmp (new original C)
v_pk_add_f16 v162, v163, v[vgprValuC+69]           // newC = rC + originalC
_buffer_atomic_cmpswap_b32 v[162:163], v159, s[sgprSrdD:sgprSrdD+3] 0 offen offset:0 glc   // attempt write
s_mov_b64 exec, s[82:83]                           // must try again
v_mov_b32 v167, v166                               // dataV+1 = tmp (new original C)
v_pk_add_f16 v166, v167, v[vgprValuC+70]           // newC = rC + originalC
_buffer_atomic_cmpswap_b32 v[166:167], v164, s[sgprSrdD:sgprSrdD+3] 0 offen offset:0 glc   // attempt write
s_mov_b64 exec, s[84:85]                           // must try again
v_mov_b32 v169, v168                               // dataV+1 = tmp (new original C)
v_pk_add_f16 v168, v169, v[vgprValuC+71]           // newC = rC + originalC
_buffer_atomic_cmpswap_b32 v[168:169], v165, s[sgprSrdD:sgprSrdD+3] 0 offen offset:0 glc   // attempt write
s_waitcnt vmcnt(0)                                 // wait for atomic writes

/* apply masks and check for success */
s_mov_b64 exec, s[62:63]                           // must try again
v_cmp_ne_u32 s[58:59], v136, v137                  // c read during atomic != c read during prior load
s_and_b64 s[62:63], s[58:59], s[62:63]             // inBounds & must try again
s_mov_b64 exec, s[64:65]                           // must try again
v_cmp_ne_u32 s[58:59], v138, v139                  // c read during atomic != c read during prior load
s_and_b64 s[64:65], s[58:59], s[64:65]             // inBounds & must try again
	;; [unrolled: 3-line block ×12, first 2 shown]

/* or masks to check for exit */
s_mov_b64 s[58:59], 0x0                            // empty mask
s_or_b64 s[58:59], s[62:63], s[58:59]              // or to add threads
s_or_b64 s[58:59], s[64:65], s[58:59]              // or to add threads
	;; [unrolled: 1-line block ×12, first 2 shown]
s_or_saveexec_b64 s[60:61], s[58:59]               // apply combined mask
s_cbranch_execnz label_0059                        // try again if not complete
label_0060:
s_mov_b64 exec, -1                                 // full mask -> exec
/* optSingleColVgpr=0 optSharedColVgpr=0 optSGPRUsage=None optSrdIncForRow=0 */

/******************************************/
/* Global Write Alpha Edge Batch #6 (d1,d0,vc1,vc0) = */
/*    (2,0,1,0:vw2:vaw:2); (2,0,1,2:vw2:vaw:2); (2,1,1,0:vw2:vaw:2); (2,1,1,2:vw2:vaw:2); (2,2,1,0:vw2:vaw:2); (2,2,1,2:vw2:vaw:2); (2,3,1,0:vw2:vaw:2); (2,3,1,2:vw2:vaw:2); (2,0,2,0:vw2:vaw:2); (2,0,2,2:vw2:vaw:2); (2,1,2,0:vw2:vaw:2); (2,1,2,2:vw2:vaw:2) */
/******************************************/

/* calc coords, apply mask, and issue loads (if necessary) */
/* (d1,vc1,d0,vc0)=(2,1,0,0) */
_v_add_co_u32 v129, vcc, v129, 1                   // coord1.1: coord1Vgpr += d1*sg1*VW + vc1

/* Fix for UseInitialStridesCD, emitAddressSetupCode */
_v_add_u32 v130, v130, s[sgprStrideC1J]            // ROWINC- Move cinRowPtr to next row
_v_add_u32 v131, v131, s[sgprStrideD1J]            // Move coutRowPtr to next row
v_cmp_lt_u32 s[58:59], v128, s[sgprSizeI]          // coord0 < size0
v_cmp_lt_u32 s[62:63], v129, s[sgprSizeJ]          // coord1 < size1
s_and_b64 s[62:63], s[58:59], s[62:63]             // in0 && in1
_v_add_lshl_u32 v134, v131, v128, 0x1              // scaleToBpe: accumulate d0 lower and *= bpe into Cin addr
v_cndmask_b32 v134, -1, v134, s[62:63]             // LDD clip if OOB. offset
_buffer_load_b32 v137, v134, s[sgprSrdD:sgprSrdD+3], 0, offen offset:0 // load D (atomic) bpm=4 vaw=2
/* (d1,vc1,d0,vc0)=(2,1,0,2) */
_v_add_co_u32 v132, vcc, v128, 2                   // coord0.1: coord0 += d0*sg0*VW + vc0
v_cmp_lt_u32 s[58:59], v132, s[sgprSizeI]          // coord0 < size0
v_cmp_lt_u32 s[64:65], v129, s[sgprSizeJ]          // coord1 < size1
s_and_b64 s[64:65], s[58:59], s[64:65]             // in0 && in1
_v_add_lshl_u32 v135, v131, v132, 0x1              // scaleToBpe: accumulate d0 lower and *= bpe into Cin addr
v_cndmask_b32 v135, -1, v135, s[64:65]             // LDD clip if OOB. offset
_buffer_load_b32 v139, v135, s[sgprSrdD:sgprSrdD+3], 0, offen offset:0 // load D (atomic) bpm=4 vaw=2
/* (d1,vc1,d0,vc0)=(2,1,1,0) */
_v_add_co_u32 v132, vcc, v128, 64                  // coord0.1: coord0 += d0*sg0*VW + vc0
v_cmp_lt_u32 s[58:59], v132, s[sgprSizeI]          // coord0 < size0
v_cmp_lt_u32 s[66:67], v129, s[sgprSizeJ]          // coord1 < size1
s_and_b64 s[66:67], s[58:59], s[66:67]             // in0 && in1
_v_add_lshl_u32 v140, v131, v132, 0x1              // scaleToBpe: accumulate d0 lower and *= bpe into Cin addr
v_cndmask_b32 v140, -1, v140, s[66:67]             // LDD clip if OOB. offset
_buffer_load_b32 v143, v140, s[sgprSrdD:sgprSrdD+3], 0, offen offset:0 // load D (atomic) bpm=4 vaw=2
/* (d1,vc1,d0,vc0)=(2,1,1,2) */
s_mov_b32 s58, 66                                  // coordOffset0 d0=1 vc0=2
_v_add_co_u32 v132, vcc, v128, s58                 // coord0.2: coord0 += d0*sg0*VW + vc0
v_cmp_lt_u32 s[58:59], v132, s[sgprSizeI]          // coord0 < size0
v_cmp_lt_u32 s[68:69], v129, s[sgprSizeJ]          // coord1 < size1
s_and_b64 s[68:69], s[58:59], s[68:69]             // in0 && in1
_v_add_lshl_u32 v141, v131, v132, 0x1              // scaleToBpe: accumulate d0 lower and *= bpe into Cin addr
v_cndmask_b32 v141, -1, v141, s[68:69]             // LDD clip if OOB. offset
_buffer_load_b32 v145, v141, s[sgprSrdD:sgprSrdD+3], 0, offen offset:0 // load D (atomic) bpm=4 vaw=2
/* (d1,vc1,d0,vc0)=(2,1,2,0) */
s_mov_b32 s58, 128                                 // coordOffset0 d0=2 vc0=0
_v_add_co_u32 v132, vcc, v128, s58                 // coord0.2: coord0 += d0*sg0*VW + vc0
v_cmp_lt_u32 s[58:59], v132, s[sgprSizeI]          // coord0 < size0
v_cmp_lt_u32 s[70:71], v129, s[sgprSizeJ]          // coord1 < size1
s_and_b64 s[70:71], s[58:59], s[70:71]             // in0 && in1
_v_add_lshl_u32 v146, v131, v132, 0x1              // scaleToBpe: accumulate d0 lower and *= bpe into Cin addr
v_cndmask_b32 v146, -1, v146, s[70:71]             // LDD clip if OOB. offset
_buffer_load_b32 v149, v146, s[sgprSrdD:sgprSrdD+3], 0, offen offset:0 // load D (atomic) bpm=4 vaw=2
/* (d1,vc1,d0,vc0)=(2,1,2,2) */
s_mov_b32 s58, 130                                 // coordOffset0 d0=2 vc0=2
	;; [unrolled: 9-line block ×4, first 2 shown]
_v_add_co_u32 v132, vcc, v128, s58                 // coord0.2: coord0 += d0*sg0*VW + vc0
v_cmp_lt_u32 s[58:59], v132, s[sgprSizeI]          // coord0 < size0
v_cmp_lt_u32 s[76:77], v129, s[sgprSizeJ]          // coord1 < size1
s_and_b64 s[76:77], s[58:59], s[76:77]             // in0 && in1
_v_add_lshl_u32 v153, v131, v132, 0x1              // scaleToBpe: accumulate d0 lower and *= bpe into Cin addr
v_cndmask_b32 v153, -1, v153, s[76:77]             // LDD clip if OOB. offset
_buffer_load_b32 v157, v153, s[sgprSrdD:sgprSrdD+3], 0, offen offset:0 // load D (atomic) bpm=4 vaw=2
/* (d1,vc1,d0,vc0)=(2,2,0,0) */
_v_add_co_u32 v129, vcc, v129, 1                   // coord1.1: coord1Vgpr += d1*sg1*VW + vc1

/* Fix for UseInitialStridesCD, emitAddressSetupCode */
_v_add_u32 v130, v130, s[sgprStrideC1J]            // ROWINC- Move cinRowPtr to next row
_v_add_u32 v131, v131, s[sgprStrideD1J]            // Move coutRowPtr to next row
v_cmp_lt_u32 s[58:59], v128, s[sgprSizeI]          // coord0 < size0
v_cmp_lt_u32 s[78:79], v129, s[sgprSizeJ]          // coord1 < size1
s_and_b64 s[78:79], s[58:59], s[78:79]             // in0 && in1
_v_add_lshl_u32 v158, v131, v128, 0x1              // scaleToBpe: accumulate d0 lower and *= bpe into Cin addr
v_cndmask_b32 v158, -1, v158, s[78:79]             // LDD clip if OOB. offset
_buffer_load_b32 v161, v158, s[sgprSrdD:sgprSrdD+3], 0, offen offset:0 // load D (atomic) bpm=4 vaw=2
/* (d1,vc1,d0,vc0)=(2,2,0,2) */
_v_add_co_u32 v132, vcc, v128, 2                   // coord0.1: coord0 += d0*sg0*VW + vc0
v_cmp_lt_u32 s[58:59], v132, s[sgprSizeI]          // coord0 < size0
v_cmp_lt_u32 s[80:81], v129, s[sgprSizeJ]          // coord1 < size1
s_and_b64 s[80:81], s[58:59], s[80:81]             // in0 && in1
_v_add_lshl_u32 v159, v131, v132, 0x1              // scaleToBpe: accumulate d0 lower and *= bpe into Cin addr
v_cndmask_b32 v159, -1, v159, s[80:81]             // LDD clip if OOB. offset
_buffer_load_b32 v163, v159, s[sgprSrdD:sgprSrdD+3], 0, offen offset:0 // load D (atomic) bpm=4 vaw=2
/* (d1,vc1,d0,vc0)=(2,2,1,0) */
_v_add_co_u32 v132, vcc, v128, 64                  // coord0.1: coord0 += d0*sg0*VW + vc0
v_cmp_lt_u32 s[58:59], v132, s[sgprSizeI]          // coord0 < size0
v_cmp_lt_u32 s[82:83], v129, s[sgprSizeJ]          // coord1 < size1
s_and_b64 s[82:83], s[58:59], s[82:83]             // in0 && in1
_v_add_lshl_u32 v164, v131, v132, 0x1              // scaleToBpe: accumulate d0 lower and *= bpe into Cin addr
v_cndmask_b32 v164, -1, v164, s[82:83]             // LDD clip if OOB. offset
_buffer_load_b32 v167, v164, s[sgprSrdD:sgprSrdD+3], 0, offen offset:0 // load D (atomic) bpm=4 vaw=2
/* (d1,vc1,d0,vc0)=(2,2,1,2) */
s_mov_b32 s58, 66                                  // coordOffset0 d0=1 vc0=2
_v_add_co_u32 v132, vcc, v128, s58                 // coord0.2: coord0 += d0*sg0*VW + vc0
v_cmp_lt_u32 s[58:59], v132, s[sgprSizeI]          // coord0 < size0
v_cmp_lt_u32 s[84:85], v129, s[sgprSizeJ]          // coord1 < size1
s_and_b64 s[84:85], s[58:59], s[84:85]             // in0 && in1
_v_add_lshl_u32 v165, v131, v132, 0x1              // scaleToBpe: accumulate d0 lower and *= bpe into Cin addr
v_cndmask_b32 v165, -1, v165, s[84:85]             // LDD clip if OOB. offset
_buffer_load_b32 v169, v165, s[sgprSrdD:sgprSrdD+3], 0, offen offset:0 // load D (atomic) bpm=4 vaw=2

/* rC *= alpha batchElements=[(2, 0, 1, 0), (2, 0, 1, 2), (2, 1, 1, 0), (2, 1, 1, 2), (2, 2, 1, 0), (2, 2, 1, 2), (2, 3, 1, 0), (2, 3, 1, 2), (2, 0, 2, 0), (2, 0, 2, 2), (2, 1, 2, 0), (2, 1, 2, 2)] */
v_pk_mul_f16 v[vgprValuC+72], s[sgprAlpha], v[vgprValuC+72] // *= alpha sumIdx=144 vi=1
v_pk_mul_f16 v[vgprValuC+73], s[sgprAlpha], v[vgprValuC+73] // *= alpha sumIdx=146 vi=1
	;; [unrolled: 1-line block ×12, first 2 shown]
s_waitcnt vmcnt(0)                                 // wait C (atomic)

/* issue first atomic writes */
s_mov_b64 exec, s[62:63]                           // sgprs -> exec (before atomic)
v_pk_add_f16 v136, v137, v[vgprValuC+72]           // desired value
_buffer_atomic_cmpswap_b32 v[136:137], v134, s[sgprSrdD:sgprSrdD+3] 0 offen offset:0 glc   // attempt write
s_mov_b64 exec, s[64:65]                           // sgprs -> exec (before atomic)
v_pk_add_f16 v138, v139, v[vgprValuC+73]           // desired value
_buffer_atomic_cmpswap_b32 v[138:139], v135, s[sgprSrdD:sgprSrdD+3] 0 offen offset:0 glc   // attempt write
	;; [unrolled: 3-line block ×12, first 2 shown]
s_waitcnt vmcnt(0)                                 // wait for atomic writes

/* check success of writes, update masks */
s_mov_b64 exec, s[62:63]                           // sgprs -> exec
v_cmp_ne_u32 s[58:59], v136, v137                  // c read during atomic != c read during prior load
s_and_b64 s[62:63], s[58:59], s[62:63]             // inBounds & must try again
s_mov_b64 exec, s[64:65]                           // sgprs -> exec
v_cmp_ne_u32 s[58:59], v138, v139                  // c read during atomic != c read during prior load
s_and_b64 s[64:65], s[58:59], s[64:65]             // inBounds & must try again
	;; [unrolled: 3-line block ×12, first 2 shown]

/* or masks to check for exit */
s_mov_b64 s[58:59], 0x0                            // empty mask
s_or_b64 s[58:59], s[62:63], s[58:59]              // or to add threads
s_or_b64 s[58:59], s[64:65], s[58:59]              // or to add threads
	;; [unrolled: 1-line block ×12, first 2 shown]
s_or_saveexec_b64 s[60:61], s[58:59]               // apply combined mask
s_cbranch_execz label_0062                         // if exec is zero skip loop

/* atomic CAS loop */
label_0061:

/* apply updated masks and issue writes again */
s_mov_b64 exec, s[62:63]                           // must try again
v_mov_b32 v137, v136                               // dataV+1 = tmp (new original C)
v_pk_add_f16 v136, v137, v[vgprValuC+72]           // newC = rC + originalC
_buffer_atomic_cmpswap_b32 v[136:137], v134, s[sgprSrdD:sgprSrdD+3] 0 offen offset:0 glc   // attempt write
s_mov_b64 exec, s[64:65]                           // must try again
v_mov_b32 v139, v138                               // dataV+1 = tmp (new original C)
v_pk_add_f16 v138, v139, v[vgprValuC+73]           // newC = rC + originalC
_buffer_atomic_cmpswap_b32 v[138:139], v135, s[sgprSrdD:sgprSrdD+3] 0 offen offset:0 glc   // attempt write
	;; [unrolled: 4-line block ×12, first 2 shown]
s_waitcnt vmcnt(0)                                 // wait for atomic writes

/* apply masks and check for success */
s_mov_b64 exec, s[62:63]                           // must try again
v_cmp_ne_u32 s[58:59], v136, v137                  // c read during atomic != c read during prior load
s_and_b64 s[62:63], s[58:59], s[62:63]             // inBounds & must try again
s_mov_b64 exec, s[64:65]                           // must try again
v_cmp_ne_u32 s[58:59], v138, v139                  // c read during atomic != c read during prior load
s_and_b64 s[64:65], s[58:59], s[64:65]             // inBounds & must try again
s_mov_b64 exec, s[66:67]                           // must try again
v_cmp_ne_u32 s[58:59], v142, v143                  // c read during atomic != c read during prior load
s_and_b64 s[66:67], s[58:59], s[66:67]             // inBounds & must try again
s_mov_b64 exec, s[68:69]                           // must try again
v_cmp_ne_u32 s[58:59], v144, v145                  // c read during atomic != c read during prior load
s_and_b64 s[68:69], s[58:59], s[68:69]             // inBounds & must try again
s_mov_b64 exec, s[70:71]                           // must try again
v_cmp_ne_u32 s[58:59], v148, v149                  // c read during atomic != c read during prior load
s_and_b64 s[70:71], s[58:59], s[70:71]             // inBounds & must try again
s_mov_b64 exec, s[72:73]                           // must try again
v_cmp_ne_u32 s[58:59], v150, v151                  // c read during atomic != c read during prior load
s_and_b64 s[72:73], s[58:59], s[72:73]             // inBounds & must try again
s_mov_b64 exec, s[74:75]                           // must try again
v_cmp_ne_u32 s[58:59], v154, v155                  // c read during atomic != c read during prior load
s_and_b64 s[74:75], s[58:59], s[74:75]             // inBounds & must try again
s_mov_b64 exec, s[76:77]                           // must try again
v_cmp_ne_u32 s[58:59], v156, v157                  // c read during atomic != c read during prior load
s_and_b64 s[76:77], s[58:59], s[76:77]             // inBounds & must try again
s_mov_b64 exec, s[78:79]                           // must try again
v_cmp_ne_u32 s[58:59], v160, v161                  // c read during atomic != c read during prior load
s_and_b64 s[78:79], s[58:59], s[78:79]             // inBounds & must try again
s_mov_b64 exec, s[80:81]                           // must try again
v_cmp_ne_u32 s[58:59], v162, v163                  // c read during atomic != c read during prior load
s_and_b64 s[80:81], s[58:59], s[80:81]             // inBounds & must try again
s_mov_b64 exec, s[82:83]                           // must try again
v_cmp_ne_u32 s[58:59], v166, v167                  // c read during atomic != c read during prior load
s_and_b64 s[82:83], s[58:59], s[82:83]             // inBounds & must try again
s_mov_b64 exec, s[84:85]                           // must try again
v_cmp_ne_u32 s[58:59], v168, v169                  // c read during atomic != c read during prior load
s_and_b64 s[84:85], s[58:59], s[84:85]             // inBounds & must try again

/* or masks to check for exit */
s_mov_b64 s[58:59], 0x0                            // empty mask
s_or_b64 s[58:59], s[62:63], s[58:59]              // or to add threads
s_or_b64 s[58:59], s[64:65], s[58:59]              // or to add threads
s_or_b64 s[58:59], s[66:67], s[58:59]              // or to add threads
s_or_b64 s[58:59], s[68:69], s[58:59]              // or to add threads
s_or_b64 s[58:59], s[70:71], s[58:59]              // or to add threads
s_or_b64 s[58:59], s[72:73], s[58:59]              // or to add threads
s_or_b64 s[58:59], s[74:75], s[58:59]              // or to add threads
s_or_b64 s[58:59], s[76:77], s[58:59]              // or to add threads
s_or_b64 s[58:59], s[78:79], s[58:59]              // or to add threads
s_or_b64 s[58:59], s[80:81], s[58:59]              // or to add threads
s_or_b64 s[58:59], s[82:83], s[58:59]              // or to add threads
s_or_b64 s[58:59], s[84:85], s[58:59]              // or to add threads
s_or_saveexec_b64 s[60:61], s[58:59]               // apply combined mask
s_cbranch_execnz label_0061                        // try again if not complete
label_0062:
s_mov_b64 exec, -1                                 // full mask -> exec
/* optSingleColVgpr=0 optSharedColVgpr=0 optSGPRUsage=None optSrdIncForRow=0 */

/******************************************/
/* Global Write Alpha Edge Batch #7 (d1,d0,vc1,vc0) = */
/*    (2,2,2,0:vw2:vaw:2); (2,2,2,2:vw2:vaw:2); (2,3,2,0:vw2:vaw:2); (2,3,2,2:vw2:vaw:2); (2,0,3,0:vw2:vaw:2); (2,0,3,2:vw2:vaw:2); (2,1,3,0:vw2:vaw:2); (2,1,3,2:vw2:vaw:2); (2,2,3,0:vw2:vaw:2); (2,2,3,2:vw2:vaw:2); (2,3,3,0:vw2:vaw:2); (2,3,3,2:vw2:vaw:2) */
/******************************************/

/* calc coords, apply mask, and issue loads (if necessary) */
/* (d1,vc1,d0,vc0)=(2,2,2,0) */
s_mov_b32 s58, 128                                 // coordOffset0 d0=2 vc0=0
_v_add_co_u32 v132, vcc, v128, s58                 // coord0.2: coord0 += d0*sg0*VW + vc0
v_cmp_lt_u32 s[58:59], v132, s[sgprSizeI]          // coord0 < size0
v_cmp_lt_u32 s[62:63], v129, s[sgprSizeJ]          // coord1 < size1
s_and_b64 s[62:63], s[58:59], s[62:63]             // in0 && in1
_v_add_lshl_u32 v134, v131, v132, 0x1              // scaleToBpe: accumulate d0 lower and *= bpe into Cin addr
v_cndmask_b32 v134, -1, v134, s[62:63]             // LDD clip if OOB. offset
_buffer_load_b32 v137, v134, s[sgprSrdD:sgprSrdD+3], 0, offen offset:0 // load D (atomic) bpm=4 vaw=2
/* (d1,vc1,d0,vc0)=(2,2,2,2) */
s_mov_b32 s58, 130                                 // coordOffset0 d0=2 vc0=2
_v_add_co_u32 v132, vcc, v128, s58                 // coord0.2: coord0 += d0*sg0*VW + vc0
v_cmp_lt_u32 s[58:59], v132, s[sgprSizeI]          // coord0 < size0
v_cmp_lt_u32 s[64:65], v129, s[sgprSizeJ]          // coord1 < size1
s_and_b64 s[64:65], s[58:59], s[64:65]             // in0 && in1
_v_add_lshl_u32 v135, v131, v132, 0x1              // scaleToBpe: accumulate d0 lower and *= bpe into Cin addr
v_cndmask_b32 v135, -1, v135, s[64:65]             // LDD clip if OOB. offset
_buffer_load_b32 v139, v135, s[sgprSrdD:sgprSrdD+3], 0, offen offset:0 // load D (atomic) bpm=4 vaw=2
	;; [unrolled: 9-line block ×4, first 2 shown]
/* (d1,vc1,d0,vc0)=(2,3,0,0) */
_v_add_co_u32 v129, vcc, v129, 1                   // coord1.1: coord1Vgpr += d1*sg1*VW + vc1

/* Fix for UseInitialStridesCD, emitAddressSetupCode */
_v_add_u32 v130, v130, s[sgprStrideC1J]            // ROWINC- Move cinRowPtr to next row
_v_add_u32 v131, v131, s[sgprStrideD1J]            // Move coutRowPtr to next row
v_cmp_lt_u32 s[58:59], v128, s[sgprSizeI]          // coord0 < size0
v_cmp_lt_u32 s[70:71], v129, s[sgprSizeJ]          // coord1 < size1
s_and_b64 s[70:71], s[58:59], s[70:71]             // in0 && in1
_v_add_lshl_u32 v146, v131, v128, 0x1              // scaleToBpe: accumulate d0 lower and *= bpe into Cin addr
v_cndmask_b32 v146, -1, v146, s[70:71]             // LDD clip if OOB. offset
_buffer_load_b32 v149, v146, s[sgprSrdD:sgprSrdD+3], 0, offen offset:0 // load D (atomic) bpm=4 vaw=2
/* (d1,vc1,d0,vc0)=(2,3,0,2) */
_v_add_co_u32 v132, vcc, v128, 2                   // coord0.1: coord0 += d0*sg0*VW + vc0
v_cmp_lt_u32 s[58:59], v132, s[sgprSizeI]          // coord0 < size0
v_cmp_lt_u32 s[72:73], v129, s[sgprSizeJ]          // coord1 < size1
s_and_b64 s[72:73], s[58:59], s[72:73]             // in0 && in1
_v_add_lshl_u32 v147, v131, v132, 0x1              // scaleToBpe: accumulate d0 lower and *= bpe into Cin addr
v_cndmask_b32 v147, -1, v147, s[72:73]             // LDD clip if OOB. offset
_buffer_load_b32 v151, v147, s[sgprSrdD:sgprSrdD+3], 0, offen offset:0 // load D (atomic) bpm=4 vaw=2
/* (d1,vc1,d0,vc0)=(2,3,1,0) */
_v_add_co_u32 v132, vcc, v128, 64                  // coord0.1: coord0 += d0*sg0*VW + vc0
v_cmp_lt_u32 s[58:59], v132, s[sgprSizeI]          // coord0 < size0
v_cmp_lt_u32 s[74:75], v129, s[sgprSizeJ]          // coord1 < size1
s_and_b64 s[74:75], s[58:59], s[74:75]             // in0 && in1
_v_add_lshl_u32 v152, v131, v132, 0x1              // scaleToBpe: accumulate d0 lower and *= bpe into Cin addr
v_cndmask_b32 v152, -1, v152, s[74:75]             // LDD clip if OOB. offset
_buffer_load_b32 v155, v152, s[sgprSrdD:sgprSrdD+3], 0, offen offset:0 // load D (atomic) bpm=4 vaw=2
/* (d1,vc1,d0,vc0)=(2,3,1,2) */
s_mov_b32 s58, 66                                  // coordOffset0 d0=1 vc0=2
_v_add_co_u32 v132, vcc, v128, s58                 // coord0.2: coord0 += d0*sg0*VW + vc0
v_cmp_lt_u32 s[58:59], v132, s[sgprSizeI]          // coord0 < size0
v_cmp_lt_u32 s[76:77], v129, s[sgprSizeJ]          // coord1 < size1
s_and_b64 s[76:77], s[58:59], s[76:77]             // in0 && in1
_v_add_lshl_u32 v153, v131, v132, 0x1              // scaleToBpe: accumulate d0 lower and *= bpe into Cin addr
v_cndmask_b32 v153, -1, v153, s[76:77]             // LDD clip if OOB. offset
_buffer_load_b32 v157, v153, s[sgprSrdD:sgprSrdD+3], 0, offen offset:0 // load D (atomic) bpm=4 vaw=2
/* (d1,vc1,d0,vc0)=(2,3,2,0) */
s_mov_b32 s58, 128                                 // coordOffset0 d0=2 vc0=0
_v_add_co_u32 v132, vcc, v128, s58                 // coord0.2: coord0 += d0*sg0*VW + vc0
v_cmp_lt_u32 s[58:59], v132, s[sgprSizeI]          // coord0 < size0
v_cmp_lt_u32 s[78:79], v129, s[sgprSizeJ]          // coord1 < size1
s_and_b64 s[78:79], s[58:59], s[78:79]             // in0 && in1
_v_add_lshl_u32 v158, v131, v132, 0x1              // scaleToBpe: accumulate d0 lower and *= bpe into Cin addr
v_cndmask_b32 v158, -1, v158, s[78:79]             // LDD clip if OOB. offset
_buffer_load_b32 v161, v158, s[sgprSrdD:sgprSrdD+3], 0, offen offset:0 // load D (atomic) bpm=4 vaw=2
/* (d1,vc1,d0,vc0)=(2,3,2,2) */
s_mov_b32 s58, 130                                 // coordOffset0 d0=2 vc0=2
	;; [unrolled: 9-line block ×4, first 2 shown]
_v_add_co_u32 v132, vcc, v128, s58                 // coord0.2: coord0 += d0*sg0*VW + vc0
v_cmp_lt_u32 s[58:59], v132, s[sgprSizeI]          // coord0 < size0
v_cmp_lt_u32 s[84:85], v129, s[sgprSizeJ]          // coord1 < size1
s_and_b64 s[84:85], s[58:59], s[84:85]             // in0 && in1
_v_add_lshl_u32 v165, v131, v132, 0x1              // scaleToBpe: accumulate d0 lower and *= bpe into Cin addr
v_cndmask_b32 v165, -1, v165, s[84:85]             // LDD clip if OOB. offset
_buffer_load_b32 v169, v165, s[sgprSrdD:sgprSrdD+3], 0, offen offset:0 // load D (atomic) bpm=4 vaw=2

/* rC *= alpha batchElements=[(2, 2, 2, 0), (2, 2, 2, 2), (2, 3, 2, 0), (2, 3, 2, 2), (2, 0, 3, 0), (2, 0, 3, 2), (2, 1, 3, 0), (2, 1, 3, 2), (2, 2, 3, 0), (2, 2, 3, 2), (2, 3, 3, 0), (2, 3, 3, 2)] */
v_pk_mul_f16 v[vgprValuC+84], s[sgprAlpha], v[vgprValuC+84] // *= alpha sumIdx=168 vi=1
v_pk_mul_f16 v[vgprValuC+85], s[sgprAlpha], v[vgprValuC+85] // *= alpha sumIdx=170 vi=1
	;; [unrolled: 1-line block ×12, first 2 shown]
s_waitcnt vmcnt(0)                                 // wait C (atomic)

/* issue first atomic writes */
s_mov_b64 exec, s[62:63]                           // sgprs -> exec (before atomic)
v_pk_add_f16 v136, v137, v[vgprValuC+84]           // desired value
_buffer_atomic_cmpswap_b32 v[136:137], v134, s[sgprSrdD:sgprSrdD+3] 0 offen offset:0 glc   // attempt write
s_mov_b64 exec, s[64:65]                           // sgprs -> exec (before atomic)
v_pk_add_f16 v138, v139, v[vgprValuC+85]           // desired value
_buffer_atomic_cmpswap_b32 v[138:139], v135, s[sgprSrdD:sgprSrdD+3] 0 offen offset:0 glc   // attempt write
	;; [unrolled: 3-line block ×12, first 2 shown]
s_waitcnt vmcnt(0)                                 // wait for atomic writes

/* check success of writes, update masks */
s_mov_b64 exec, s[62:63]                           // sgprs -> exec
v_cmp_ne_u32 s[58:59], v136, v137                  // c read during atomic != c read during prior load
s_and_b64 s[62:63], s[58:59], s[62:63]             // inBounds & must try again
s_mov_b64 exec, s[64:65]                           // sgprs -> exec
v_cmp_ne_u32 s[58:59], v138, v139                  // c read during atomic != c read during prior load
s_and_b64 s[64:65], s[58:59], s[64:65]             // inBounds & must try again
	;; [unrolled: 3-line block ×12, first 2 shown]

/* or masks to check for exit */
s_mov_b64 s[58:59], 0x0                            // empty mask
s_or_b64 s[58:59], s[62:63], s[58:59]              // or to add threads
s_or_b64 s[58:59], s[64:65], s[58:59]              // or to add threads
	;; [unrolled: 1-line block ×12, first 2 shown]
s_or_saveexec_b64 s[60:61], s[58:59]               // apply combined mask
s_cbranch_execz label_0064                         // if exec is zero skip loop

/* atomic CAS loop */
label_0063:

/* apply updated masks and issue writes again */
s_mov_b64 exec, s[62:63]                           // must try again
v_mov_b32 v137, v136                               // dataV+1 = tmp (new original C)
v_pk_add_f16 v136, v137, v[vgprValuC+84]           // newC = rC + originalC
_buffer_atomic_cmpswap_b32 v[136:137], v134, s[sgprSrdD:sgprSrdD+3] 0 offen offset:0 glc   // attempt write
s_mov_b64 exec, s[64:65]                           // must try again
v_mov_b32 v139, v138                               // dataV+1 = tmp (new original C)
v_pk_add_f16 v138, v139, v[vgprValuC+85]           // newC = rC + originalC
_buffer_atomic_cmpswap_b32 v[138:139], v135, s[sgprSrdD:sgprSrdD+3] 0 offen offset:0 glc   // attempt write
	;; [unrolled: 4-line block ×12, first 2 shown]
s_waitcnt vmcnt(0)                                 // wait for atomic writes

/* apply masks and check for success */
s_mov_b64 exec, s[62:63]                           // must try again
v_cmp_ne_u32 s[58:59], v136, v137                  // c read during atomic != c read during prior load
s_and_b64 s[62:63], s[58:59], s[62:63]             // inBounds & must try again
s_mov_b64 exec, s[64:65]                           // must try again
v_cmp_ne_u32 s[58:59], v138, v139                  // c read during atomic != c read during prior load
s_and_b64 s[64:65], s[58:59], s[64:65]             // inBounds & must try again
	;; [unrolled: 3-line block ×12, first 2 shown]

/* or masks to check for exit */
s_mov_b64 s[58:59], 0x0                            // empty mask
s_or_b64 s[58:59], s[62:63], s[58:59]              // or to add threads
s_or_b64 s[58:59], s[64:65], s[58:59]              // or to add threads
	;; [unrolled: 1-line block ×12, first 2 shown]
s_or_saveexec_b64 s[60:61], s[58:59]               // apply combined mask
s_cbranch_execnz label_0063                        // try again if not complete
label_0064:
s_mov_b64 exec, -1                                 // full mask -> exec
/* optSingleColVgpr=0 optSharedColVgpr=0 optSGPRUsage=None optSrdIncForRow=0 */

/******************************************/
/* Global Write Alpha Edge Batch #8 (d1,d0,vc1,vc0) = */
/*    (3,0,0,0:vw2:vaw:2); (3,0,0,2:vw2:vaw:2); (3,1,0,0:vw2:vaw:2); (3,1,0,2:vw2:vaw:2); (3,2,0,0:vw2:vaw:2); (3,2,0,2:vw2:vaw:2); (3,3,0,0:vw2:vaw:2); (3,3,0,2:vw2:vaw:2); (3,0,1,0:vw2:vaw:2); (3,0,1,2:vw2:vaw:2); (3,1,1,0:vw2:vaw:2); (3,1,1,2:vw2:vaw:2) */
/******************************************/

/* calc coords, apply mask, and issue loads (if necessary) */
/* (d1,vc1,d0,vc0)=(3,0,0,0) */
_v_add_co_u32 v129, vcc, v129, 61                  // coord1.1: coord1Vgpr += d1*sg1*VW + vc1

/* Fix for UseInitialStridesCD, emitAddressSetupCode */
s_mul_i32 s58, s[sgprStrideC1J], 61                // scale stride
_v_add_u32 v130, v130, s58                         // ROWINC- Move cinRowPtr to next row
s_mul_i32 s58, s[sgprStrideD1J], 61                // scale stride
_v_add_u32 v131, v131, s58                         // Move coutRowPtr to next row
v_cmp_lt_u32 s[58:59], v128, s[sgprSizeI]          // coord0 < size0
v_cmp_lt_u32 s[62:63], v129, s[sgprSizeJ]          // coord1 < size1
s_and_b64 s[62:63], s[58:59], s[62:63]             // in0 && in1
_v_add_lshl_u32 v134, v131, v128, 0x1              // scaleToBpe: accumulate d0 lower and *= bpe into Cin addr
v_cndmask_b32 v134, -1, v134, s[62:63]             // LDD clip if OOB. offset
_buffer_load_b32 v137, v134, s[sgprSrdD:sgprSrdD+3], 0, offen offset:0 // load D (atomic) bpm=4 vaw=2
/* (d1,vc1,d0,vc0)=(3,0,0,2) */
_v_add_co_u32 v132, vcc, v128, 2                   // coord0.1: coord0 += d0*sg0*VW + vc0
v_cmp_lt_u32 s[58:59], v132, s[sgprSizeI]          // coord0 < size0
v_cmp_lt_u32 s[64:65], v129, s[sgprSizeJ]          // coord1 < size1
s_and_b64 s[64:65], s[58:59], s[64:65]             // in0 && in1
_v_add_lshl_u32 v135, v131, v132, 0x1              // scaleToBpe: accumulate d0 lower and *= bpe into Cin addr
v_cndmask_b32 v135, -1, v135, s[64:65]             // LDD clip if OOB. offset
_buffer_load_b32 v139, v135, s[sgprSrdD:sgprSrdD+3], 0, offen offset:0 // load D (atomic) bpm=4 vaw=2
/* (d1,vc1,d0,vc0)=(3,0,1,0) */
_v_add_co_u32 v132, vcc, v128, 64                  // coord0.1: coord0 += d0*sg0*VW + vc0
v_cmp_lt_u32 s[58:59], v132, s[sgprSizeI]          // coord0 < size0
v_cmp_lt_u32 s[66:67], v129, s[sgprSizeJ]          // coord1 < size1
s_and_b64 s[66:67], s[58:59], s[66:67]             // in0 && in1
_v_add_lshl_u32 v140, v131, v132, 0x1              // scaleToBpe: accumulate d0 lower and *= bpe into Cin addr
v_cndmask_b32 v140, -1, v140, s[66:67]             // LDD clip if OOB. offset
_buffer_load_b32 v143, v140, s[sgprSrdD:sgprSrdD+3], 0, offen offset:0 // load D (atomic) bpm=4 vaw=2
/* (d1,vc1,d0,vc0)=(3,0,1,2) */
s_mov_b32 s58, 66                                  // coordOffset0 d0=1 vc0=2
_v_add_co_u32 v132, vcc, v128, s58                 // coord0.2: coord0 += d0*sg0*VW + vc0
v_cmp_lt_u32 s[58:59], v132, s[sgprSizeI]          // coord0 < size0
v_cmp_lt_u32 s[68:69], v129, s[sgprSizeJ]          // coord1 < size1
s_and_b64 s[68:69], s[58:59], s[68:69]             // in0 && in1
_v_add_lshl_u32 v141, v131, v132, 0x1              // scaleToBpe: accumulate d0 lower and *= bpe into Cin addr
v_cndmask_b32 v141, -1, v141, s[68:69]             // LDD clip if OOB. offset
_buffer_load_b32 v145, v141, s[sgprSrdD:sgprSrdD+3], 0, offen offset:0 // load D (atomic) bpm=4 vaw=2
/* (d1,vc1,d0,vc0)=(3,0,2,0) */
s_mov_b32 s58, 128                                 // coordOffset0 d0=2 vc0=0
_v_add_co_u32 v132, vcc, v128, s58                 // coord0.2: coord0 += d0*sg0*VW + vc0
v_cmp_lt_u32 s[58:59], v132, s[sgprSizeI]          // coord0 < size0
v_cmp_lt_u32 s[70:71], v129, s[sgprSizeJ]          // coord1 < size1
s_and_b64 s[70:71], s[58:59], s[70:71]             // in0 && in1
_v_add_lshl_u32 v146, v131, v132, 0x1              // scaleToBpe: accumulate d0 lower and *= bpe into Cin addr
v_cndmask_b32 v146, -1, v146, s[70:71]             // LDD clip if OOB. offset
_buffer_load_b32 v149, v146, s[sgprSrdD:sgprSrdD+3], 0, offen offset:0 // load D (atomic) bpm=4 vaw=2
/* (d1,vc1,d0,vc0)=(3,0,2,2) */
s_mov_b32 s58, 130                                 // coordOffset0 d0=2 vc0=2
	;; [unrolled: 9-line block ×4, first 2 shown]
_v_add_co_u32 v132, vcc, v128, s58                 // coord0.2: coord0 += d0*sg0*VW + vc0
v_cmp_lt_u32 s[58:59], v132, s[sgprSizeI]          // coord0 < size0
v_cmp_lt_u32 s[76:77], v129, s[sgprSizeJ]          // coord1 < size1
s_and_b64 s[76:77], s[58:59], s[76:77]             // in0 && in1
_v_add_lshl_u32 v153, v131, v132, 0x1              // scaleToBpe: accumulate d0 lower and *= bpe into Cin addr
v_cndmask_b32 v153, -1, v153, s[76:77]             // LDD clip if OOB. offset
_buffer_load_b32 v157, v153, s[sgprSrdD:sgprSrdD+3], 0, offen offset:0 // load D (atomic) bpm=4 vaw=2
/* (d1,vc1,d0,vc0)=(3,1,0,0) */
_v_add_co_u32 v129, vcc, v129, 1                   // coord1.1: coord1Vgpr += d1*sg1*VW + vc1

/* Fix for UseInitialStridesCD, emitAddressSetupCode */
_v_add_u32 v130, v130, s[sgprStrideC1J]            // ROWINC- Move cinRowPtr to next row
_v_add_u32 v131, v131, s[sgprStrideD1J]            // Move coutRowPtr to next row
v_cmp_lt_u32 s[58:59], v128, s[sgprSizeI]          // coord0 < size0
v_cmp_lt_u32 s[78:79], v129, s[sgprSizeJ]          // coord1 < size1
s_and_b64 s[78:79], s[58:59], s[78:79]             // in0 && in1
_v_add_lshl_u32 v158, v131, v128, 0x1              // scaleToBpe: accumulate d0 lower and *= bpe into Cin addr
v_cndmask_b32 v158, -1, v158, s[78:79]             // LDD clip if OOB. offset
_buffer_load_b32 v161, v158, s[sgprSrdD:sgprSrdD+3], 0, offen offset:0 // load D (atomic) bpm=4 vaw=2
/* (d1,vc1,d0,vc0)=(3,1,0,2) */
_v_add_co_u32 v132, vcc, v128, 2                   // coord0.1: coord0 += d0*sg0*VW + vc0
v_cmp_lt_u32 s[58:59], v132, s[sgprSizeI]          // coord0 < size0
v_cmp_lt_u32 s[80:81], v129, s[sgprSizeJ]          // coord1 < size1
s_and_b64 s[80:81], s[58:59], s[80:81]             // in0 && in1
_v_add_lshl_u32 v159, v131, v132, 0x1              // scaleToBpe: accumulate d0 lower and *= bpe into Cin addr
v_cndmask_b32 v159, -1, v159, s[80:81]             // LDD clip if OOB. offset
_buffer_load_b32 v163, v159, s[sgprSrdD:sgprSrdD+3], 0, offen offset:0 // load D (atomic) bpm=4 vaw=2
/* (d1,vc1,d0,vc0)=(3,1,1,0) */
_v_add_co_u32 v132, vcc, v128, 64                  // coord0.1: coord0 += d0*sg0*VW + vc0
v_cmp_lt_u32 s[58:59], v132, s[sgprSizeI]          // coord0 < size0
v_cmp_lt_u32 s[82:83], v129, s[sgprSizeJ]          // coord1 < size1
s_and_b64 s[82:83], s[58:59], s[82:83]             // in0 && in1
_v_add_lshl_u32 v164, v131, v132, 0x1              // scaleToBpe: accumulate d0 lower and *= bpe into Cin addr
v_cndmask_b32 v164, -1, v164, s[82:83]             // LDD clip if OOB. offset
_buffer_load_b32 v167, v164, s[sgprSrdD:sgprSrdD+3], 0, offen offset:0 // load D (atomic) bpm=4 vaw=2
/* (d1,vc1,d0,vc0)=(3,1,1,2) */
s_mov_b32 s58, 66                                  // coordOffset0 d0=1 vc0=2
_v_add_co_u32 v132, vcc, v128, s58                 // coord0.2: coord0 += d0*sg0*VW + vc0
v_cmp_lt_u32 s[58:59], v132, s[sgprSizeI]          // coord0 < size0
v_cmp_lt_u32 s[84:85], v129, s[sgprSizeJ]          // coord1 < size1
s_and_b64 s[84:85], s[58:59], s[84:85]             // in0 && in1
_v_add_lshl_u32 v165, v131, v132, 0x1              // scaleToBpe: accumulate d0 lower and *= bpe into Cin addr
v_cndmask_b32 v165, -1, v165, s[84:85]             // LDD clip if OOB. offset
_buffer_load_b32 v169, v165, s[sgprSrdD:sgprSrdD+3], 0, offen offset:0 // load D (atomic) bpm=4 vaw=2

/* rC *= alpha batchElements=[(3, 0, 0, 0), (3, 0, 0, 2), (3, 1, 0, 0), (3, 1, 0, 2), (3, 2, 0, 0), (3, 2, 0, 2), (3, 3, 0, 0), (3, 3, 0, 2), (3, 0, 1, 0), (3, 0, 1, 2), (3, 1, 1, 0), (3, 1, 1, 2)] */
v_pk_mul_f16 v[vgprValuC+96], s[sgprAlpha], v[vgprValuC+96] // *= alpha sumIdx=192 vi=1
v_pk_mul_f16 v[vgprValuC+97], s[sgprAlpha], v[vgprValuC+97] // *= alpha sumIdx=194 vi=1
	;; [unrolled: 1-line block ×12, first 2 shown]
s_waitcnt vmcnt(0)                                 // wait C (atomic)

/* issue first atomic writes */
s_mov_b64 exec, s[62:63]                           // sgprs -> exec (before atomic)
v_pk_add_f16 v136, v137, v[vgprValuC+96]           // desired value
_buffer_atomic_cmpswap_b32 v[136:137], v134, s[sgprSrdD:sgprSrdD+3] 0 offen offset:0 glc   // attempt write
s_mov_b64 exec, s[64:65]                           // sgprs -> exec (before atomic)
v_pk_add_f16 v138, v139, v[vgprValuC+97]           // desired value
_buffer_atomic_cmpswap_b32 v[138:139], v135, s[sgprSrdD:sgprSrdD+3] 0 offen offset:0 glc   // attempt write
	;; [unrolled: 3-line block ×4, first 2 shown]
s_mov_b64 exec, s[70:71]                           // sgprs -> exec (before atomic)
v_pk_add_f16 v148, v149, v[vgprValuC+100]          // desired value
_buffer_atomic_cmpswap_b32 v[148:149], v146, s[sgprSrdD:sgprSrdD+3] 0 offen offset:0 glc   // attempt write
s_mov_b64 exec, s[72:73]                           // sgprs -> exec (before atomic)
v_pk_add_f16 v150, v151, v[vgprValuC+101]          // desired value
_buffer_atomic_cmpswap_b32 v[150:151], v147, s[sgprSrdD:sgprSrdD+3] 0 offen offset:0 glc   // attempt write
s_mov_b64 exec, s[74:75]                           // sgprs -> exec (before atomic)
v_pk_add_f16 v154, v155, v[vgprValuC+102]          // desired value
_buffer_atomic_cmpswap_b32 v[154:155], v152, s[sgprSrdD:sgprSrdD+3] 0 offen offset:0 glc   // attempt write
s_mov_b64 exec, s[76:77]                           // sgprs -> exec (before atomic)
v_pk_add_f16 v156, v157, v[vgprValuC+103]          // desired value
_buffer_atomic_cmpswap_b32 v[156:157], v153, s[sgprSrdD:sgprSrdD+3] 0 offen offset:0 glc   // attempt write
s_mov_b64 exec, s[78:79]                           // sgprs -> exec (before atomic)
v_pk_add_f16 v160, v161, v[vgprValuC+104]          // desired value
_buffer_atomic_cmpswap_b32 v[160:161], v158, s[sgprSrdD:sgprSrdD+3] 0 offen offset:0 glc   // attempt write
s_mov_b64 exec, s[80:81]                           // sgprs -> exec (before atomic)
v_pk_add_f16 v162, v163, v[vgprValuC+105]          // desired value
_buffer_atomic_cmpswap_b32 v[162:163], v159, s[sgprSrdD:sgprSrdD+3] 0 offen offset:0 glc   // attempt write
s_mov_b64 exec, s[82:83]                           // sgprs -> exec (before atomic)
v_pk_add_f16 v166, v167, v[vgprValuC+106]          // desired value
_buffer_atomic_cmpswap_b32 v[166:167], v164, s[sgprSrdD:sgprSrdD+3] 0 offen offset:0 glc   // attempt write
s_mov_b64 exec, s[84:85]                           // sgprs -> exec (before atomic)
v_pk_add_f16 v168, v169, v[vgprValuC+107]          // desired value
_buffer_atomic_cmpswap_b32 v[168:169], v165, s[sgprSrdD:sgprSrdD+3] 0 offen offset:0 glc   // attempt write
s_waitcnt vmcnt(0)                                 // wait for atomic writes

/* check success of writes, update masks */
s_mov_b64 exec, s[62:63]                           // sgprs -> exec
v_cmp_ne_u32 s[58:59], v136, v137                  // c read during atomic != c read during prior load
s_and_b64 s[62:63], s[58:59], s[62:63]             // inBounds & must try again
s_mov_b64 exec, s[64:65]                           // sgprs -> exec
v_cmp_ne_u32 s[58:59], v138, v139                  // c read during atomic != c read during prior load
s_and_b64 s[64:65], s[58:59], s[64:65]             // inBounds & must try again
	;; [unrolled: 3-line block ×12, first 2 shown]

/* or masks to check for exit */
s_mov_b64 s[58:59], 0x0                            // empty mask
s_or_b64 s[58:59], s[62:63], s[58:59]              // or to add threads
s_or_b64 s[58:59], s[64:65], s[58:59]              // or to add threads
	;; [unrolled: 1-line block ×12, first 2 shown]
s_or_saveexec_b64 s[60:61], s[58:59]               // apply combined mask
s_cbranch_execz label_0066                         // if exec is zero skip loop

/* atomic CAS loop */
label_0065:

/* apply updated masks and issue writes again */
s_mov_b64 exec, s[62:63]                           // must try again
v_mov_b32 v137, v136                               // dataV+1 = tmp (new original C)
v_pk_add_f16 v136, v137, v[vgprValuC+96]           // newC = rC + originalC
_buffer_atomic_cmpswap_b32 v[136:137], v134, s[sgprSrdD:sgprSrdD+3] 0 offen offset:0 glc   // attempt write
s_mov_b64 exec, s[64:65]                           // must try again
v_mov_b32 v139, v138                               // dataV+1 = tmp (new original C)
v_pk_add_f16 v138, v139, v[vgprValuC+97]           // newC = rC + originalC
_buffer_atomic_cmpswap_b32 v[138:139], v135, s[sgprSrdD:sgprSrdD+3] 0 offen offset:0 glc   // attempt write
	;; [unrolled: 4-line block ×4, first 2 shown]
s_mov_b64 exec, s[70:71]                           // must try again
v_mov_b32 v149, v148                               // dataV+1 = tmp (new original C)
v_pk_add_f16 v148, v149, v[vgprValuC+100]          // newC = rC + originalC
_buffer_atomic_cmpswap_b32 v[148:149], v146, s[sgprSrdD:sgprSrdD+3] 0 offen offset:0 glc   // attempt write
s_mov_b64 exec, s[72:73]                           // must try again
v_mov_b32 v151, v150                               // dataV+1 = tmp (new original C)
v_pk_add_f16 v150, v151, v[vgprValuC+101]          // newC = rC + originalC
_buffer_atomic_cmpswap_b32 v[150:151], v147, s[sgprSrdD:sgprSrdD+3] 0 offen offset:0 glc   // attempt write
s_mov_b64 exec, s[74:75]                           // must try again
v_mov_b32 v155, v154                               // dataV+1 = tmp (new original C)
v_pk_add_f16 v154, v155, v[vgprValuC+102]          // newC = rC + originalC
_buffer_atomic_cmpswap_b32 v[154:155], v152, s[sgprSrdD:sgprSrdD+3] 0 offen offset:0 glc   // attempt write
s_mov_b64 exec, s[76:77]                           // must try again
v_mov_b32 v157, v156                               // dataV+1 = tmp (new original C)
v_pk_add_f16 v156, v157, v[vgprValuC+103]          // newC = rC + originalC
_buffer_atomic_cmpswap_b32 v[156:157], v153, s[sgprSrdD:sgprSrdD+3] 0 offen offset:0 glc   // attempt write
s_mov_b64 exec, s[78:79]                           // must try again
v_mov_b32 v161, v160                               // dataV+1 = tmp (new original C)
v_pk_add_f16 v160, v161, v[vgprValuC+104]          // newC = rC + originalC
_buffer_atomic_cmpswap_b32 v[160:161], v158, s[sgprSrdD:sgprSrdD+3] 0 offen offset:0 glc   // attempt write
s_mov_b64 exec, s[80:81]                           // must try again
v_mov_b32 v163, v162                               // dataV+1 = tmp (new original C)
v_pk_add_f16 v162, v163, v[vgprValuC+105]          // newC = rC + originalC
_buffer_atomic_cmpswap_b32 v[162:163], v159, s[sgprSrdD:sgprSrdD+3] 0 offen offset:0 glc   // attempt write
s_mov_b64 exec, s[82:83]                           // must try again
v_mov_b32 v167, v166                               // dataV+1 = tmp (new original C)
v_pk_add_f16 v166, v167, v[vgprValuC+106]          // newC = rC + originalC
_buffer_atomic_cmpswap_b32 v[166:167], v164, s[sgprSrdD:sgprSrdD+3] 0 offen offset:0 glc   // attempt write
s_mov_b64 exec, s[84:85]                           // must try again
v_mov_b32 v169, v168                               // dataV+1 = tmp (new original C)
v_pk_add_f16 v168, v169, v[vgprValuC+107]          // newC = rC + originalC
_buffer_atomic_cmpswap_b32 v[168:169], v165, s[sgprSrdD:sgprSrdD+3] 0 offen offset:0 glc   // attempt write
s_waitcnt vmcnt(0)                                 // wait for atomic writes

/* apply masks and check for success */
s_mov_b64 exec, s[62:63]                           // must try again
v_cmp_ne_u32 s[58:59], v136, v137                  // c read during atomic != c read during prior load
s_and_b64 s[62:63], s[58:59], s[62:63]             // inBounds & must try again
s_mov_b64 exec, s[64:65]                           // must try again
v_cmp_ne_u32 s[58:59], v138, v139                  // c read during atomic != c read during prior load
s_and_b64 s[64:65], s[58:59], s[64:65]             // inBounds & must try again
	;; [unrolled: 3-line block ×12, first 2 shown]

/* or masks to check for exit */
s_mov_b64 s[58:59], 0x0                            // empty mask
s_or_b64 s[58:59], s[62:63], s[58:59]              // or to add threads
s_or_b64 s[58:59], s[64:65], s[58:59]              // or to add threads
	;; [unrolled: 1-line block ×12, first 2 shown]
s_or_saveexec_b64 s[60:61], s[58:59]               // apply combined mask
s_cbranch_execnz label_0065                        // try again if not complete
label_0066:
s_mov_b64 exec, -1                                 // full mask -> exec
/* optSingleColVgpr=0 optSharedColVgpr=0 optSGPRUsage=None optSrdIncForRow=0 */

/******************************************/
/* Global Write Alpha Edge Batch #9 (d1,d0,vc1,vc0) = */
/*    (3,2,1,0:vw2:vaw:2); (3,2,1,2:vw2:vaw:2); (3,3,1,0:vw2:vaw:2); (3,3,1,2:vw2:vaw:2); (3,0,2,0:vw2:vaw:2); (3,0,2,2:vw2:vaw:2); (3,1,2,0:vw2:vaw:2); (3,1,2,2:vw2:vaw:2); (3,2,2,0:vw2:vaw:2); (3,2,2,2:vw2:vaw:2); (3,3,2,0:vw2:vaw:2); (3,3,2,2:vw2:vaw:2) */
/******************************************/

/* calc coords, apply mask, and issue loads (if necessary) */
/* (d1,vc1,d0,vc0)=(3,1,2,0) */
s_mov_b32 s58, 128                                 // coordOffset0 d0=2 vc0=0
_v_add_co_u32 v132, vcc, v128, s58                 // coord0.2: coord0 += d0*sg0*VW + vc0
v_cmp_lt_u32 s[58:59], v132, s[sgprSizeI]          // coord0 < size0
v_cmp_lt_u32 s[62:63], v129, s[sgprSizeJ]          // coord1 < size1
s_and_b64 s[62:63], s[58:59], s[62:63]             // in0 && in1
_v_add_lshl_u32 v134, v131, v132, 0x1              // scaleToBpe: accumulate d0 lower and *= bpe into Cin addr
v_cndmask_b32 v134, -1, v134, s[62:63]             // LDD clip if OOB. offset
_buffer_load_b32 v137, v134, s[sgprSrdD:sgprSrdD+3], 0, offen offset:0 // load D (atomic) bpm=4 vaw=2
/* (d1,vc1,d0,vc0)=(3,1,2,2) */
s_mov_b32 s58, 130                                 // coordOffset0 d0=2 vc0=2
_v_add_co_u32 v132, vcc, v128, s58                 // coord0.2: coord0 += d0*sg0*VW + vc0
v_cmp_lt_u32 s[58:59], v132, s[sgprSizeI]          // coord0 < size0
v_cmp_lt_u32 s[64:65], v129, s[sgprSizeJ]          // coord1 < size1
s_and_b64 s[64:65], s[58:59], s[64:65]             // in0 && in1
_v_add_lshl_u32 v135, v131, v132, 0x1              // scaleToBpe: accumulate d0 lower and *= bpe into Cin addr
v_cndmask_b32 v135, -1, v135, s[64:65]             // LDD clip if OOB. offset
_buffer_load_b32 v139, v135, s[sgprSrdD:sgprSrdD+3], 0, offen offset:0 // load D (atomic) bpm=4 vaw=2
	;; [unrolled: 9-line block ×4, first 2 shown]
/* (d1,vc1,d0,vc0)=(3,2,0,0) */
_v_add_co_u32 v129, vcc, v129, 1                   // coord1.1: coord1Vgpr += d1*sg1*VW + vc1

/* Fix for UseInitialStridesCD, emitAddressSetupCode */
_v_add_u32 v130, v130, s[sgprStrideC1J]            // ROWINC- Move cinRowPtr to next row
_v_add_u32 v131, v131, s[sgprStrideD1J]            // Move coutRowPtr to next row
v_cmp_lt_u32 s[58:59], v128, s[sgprSizeI]          // coord0 < size0
v_cmp_lt_u32 s[70:71], v129, s[sgprSizeJ]          // coord1 < size1
s_and_b64 s[70:71], s[58:59], s[70:71]             // in0 && in1
_v_add_lshl_u32 v146, v131, v128, 0x1              // scaleToBpe: accumulate d0 lower and *= bpe into Cin addr
v_cndmask_b32 v146, -1, v146, s[70:71]             // LDD clip if OOB. offset
_buffer_load_b32 v149, v146, s[sgprSrdD:sgprSrdD+3], 0, offen offset:0 // load D (atomic) bpm=4 vaw=2
/* (d1,vc1,d0,vc0)=(3,2,0,2) */
_v_add_co_u32 v132, vcc, v128, 2                   // coord0.1: coord0 += d0*sg0*VW + vc0
v_cmp_lt_u32 s[58:59], v132, s[sgprSizeI]          // coord0 < size0
v_cmp_lt_u32 s[72:73], v129, s[sgprSizeJ]          // coord1 < size1
s_and_b64 s[72:73], s[58:59], s[72:73]             // in0 && in1
_v_add_lshl_u32 v147, v131, v132, 0x1              // scaleToBpe: accumulate d0 lower and *= bpe into Cin addr
v_cndmask_b32 v147, -1, v147, s[72:73]             // LDD clip if OOB. offset
_buffer_load_b32 v151, v147, s[sgprSrdD:sgprSrdD+3], 0, offen offset:0 // load D (atomic) bpm=4 vaw=2
/* (d1,vc1,d0,vc0)=(3,2,1,0) */
_v_add_co_u32 v132, vcc, v128, 64                  // coord0.1: coord0 += d0*sg0*VW + vc0
v_cmp_lt_u32 s[58:59], v132, s[sgprSizeI]          // coord0 < size0
v_cmp_lt_u32 s[74:75], v129, s[sgprSizeJ]          // coord1 < size1
s_and_b64 s[74:75], s[58:59], s[74:75]             // in0 && in1
_v_add_lshl_u32 v152, v131, v132, 0x1              // scaleToBpe: accumulate d0 lower and *= bpe into Cin addr
v_cndmask_b32 v152, -1, v152, s[74:75]             // LDD clip if OOB. offset
_buffer_load_b32 v155, v152, s[sgprSrdD:sgprSrdD+3], 0, offen offset:0 // load D (atomic) bpm=4 vaw=2
/* (d1,vc1,d0,vc0)=(3,2,1,2) */
s_mov_b32 s58, 66                                  // coordOffset0 d0=1 vc0=2
_v_add_co_u32 v132, vcc, v128, s58                 // coord0.2: coord0 += d0*sg0*VW + vc0
v_cmp_lt_u32 s[58:59], v132, s[sgprSizeI]          // coord0 < size0
v_cmp_lt_u32 s[76:77], v129, s[sgprSizeJ]          // coord1 < size1
s_and_b64 s[76:77], s[58:59], s[76:77]             // in0 && in1
_v_add_lshl_u32 v153, v131, v132, 0x1              // scaleToBpe: accumulate d0 lower and *= bpe into Cin addr
v_cndmask_b32 v153, -1, v153, s[76:77]             // LDD clip if OOB. offset
_buffer_load_b32 v157, v153, s[sgprSrdD:sgprSrdD+3], 0, offen offset:0 // load D (atomic) bpm=4 vaw=2
/* (d1,vc1,d0,vc0)=(3,2,2,0) */
s_mov_b32 s58, 128                                 // coordOffset0 d0=2 vc0=0
_v_add_co_u32 v132, vcc, v128, s58                 // coord0.2: coord0 += d0*sg0*VW + vc0
v_cmp_lt_u32 s[58:59], v132, s[sgprSizeI]          // coord0 < size0
v_cmp_lt_u32 s[78:79], v129, s[sgprSizeJ]          // coord1 < size1
s_and_b64 s[78:79], s[58:59], s[78:79]             // in0 && in1
_v_add_lshl_u32 v158, v131, v132, 0x1              // scaleToBpe: accumulate d0 lower and *= bpe into Cin addr
v_cndmask_b32 v158, -1, v158, s[78:79]             // LDD clip if OOB. offset
_buffer_load_b32 v161, v158, s[sgprSrdD:sgprSrdD+3], 0, offen offset:0 // load D (atomic) bpm=4 vaw=2
/* (d1,vc1,d0,vc0)=(3,2,2,2) */
s_mov_b32 s58, 130                                 // coordOffset0 d0=2 vc0=2
	;; [unrolled: 9-line block ×4, first 2 shown]
_v_add_co_u32 v132, vcc, v128, s58                 // coord0.2: coord0 += d0*sg0*VW + vc0
v_cmp_lt_u32 s[58:59], v132, s[sgprSizeI]          // coord0 < size0
v_cmp_lt_u32 s[84:85], v129, s[sgprSizeJ]          // coord1 < size1
s_and_b64 s[84:85], s[58:59], s[84:85]             // in0 && in1
_v_add_lshl_u32 v165, v131, v132, 0x1              // scaleToBpe: accumulate d0 lower and *= bpe into Cin addr
v_cndmask_b32 v165, -1, v165, s[84:85]             // LDD clip if OOB. offset
_buffer_load_b32 v169, v165, s[sgprSrdD:sgprSrdD+3], 0, offen offset:0 // load D (atomic) bpm=4 vaw=2

/* rC *= alpha batchElements=[(3, 2, 1, 0), (3, 2, 1, 2), (3, 3, 1, 0), (3, 3, 1, 2), (3, 0, 2, 0), (3, 0, 2, 2), (3, 1, 2, 0), (3, 1, 2, 2), (3, 2, 2, 0), (3, 2, 2, 2), (3, 3, 2, 0), (3, 3, 2, 2)] */
v_pk_mul_f16 v[vgprValuC+108], s[sgprAlpha], v[vgprValuC+108] // *= alpha sumIdx=216 vi=1
v_pk_mul_f16 v[vgprValuC+109], s[sgprAlpha], v[vgprValuC+109] // *= alpha sumIdx=218 vi=1
	;; [unrolled: 1-line block ×12, first 2 shown]
s_waitcnt vmcnt(0)                                 // wait C (atomic)

/* issue first atomic writes */
s_mov_b64 exec, s[62:63]                           // sgprs -> exec (before atomic)
v_pk_add_f16 v136, v137, v[vgprValuC+108]          // desired value
_buffer_atomic_cmpswap_b32 v[136:137], v134, s[sgprSrdD:sgprSrdD+3] 0 offen offset:0 glc   // attempt write
s_mov_b64 exec, s[64:65]                           // sgprs -> exec (before atomic)
v_pk_add_f16 v138, v139, v[vgprValuC+109]          // desired value
_buffer_atomic_cmpswap_b32 v[138:139], v135, s[sgprSrdD:sgprSrdD+3] 0 offen offset:0 glc   // attempt write
	;; [unrolled: 3-line block ×12, first 2 shown]
s_waitcnt vmcnt(0)                                 // wait for atomic writes

/* check success of writes, update masks */
s_mov_b64 exec, s[62:63]                           // sgprs -> exec
v_cmp_ne_u32 s[58:59], v136, v137                  // c read during atomic != c read during prior load
s_and_b64 s[62:63], s[58:59], s[62:63]             // inBounds & must try again
s_mov_b64 exec, s[64:65]                           // sgprs -> exec
v_cmp_ne_u32 s[58:59], v138, v139                  // c read during atomic != c read during prior load
s_and_b64 s[64:65], s[58:59], s[64:65]             // inBounds & must try again
	;; [unrolled: 3-line block ×12, first 2 shown]

/* or masks to check for exit */
s_mov_b64 s[58:59], 0x0                            // empty mask
s_or_b64 s[58:59], s[62:63], s[58:59]              // or to add threads
s_or_b64 s[58:59], s[64:65], s[58:59]              // or to add threads
	;; [unrolled: 1-line block ×12, first 2 shown]
s_or_saveexec_b64 s[60:61], s[58:59]               // apply combined mask
s_cbranch_execz label_0068                         // if exec is zero skip loop

/* atomic CAS loop */
label_0067:

/* apply updated masks and issue writes again */
s_mov_b64 exec, s[62:63]                           // must try again
v_mov_b32 v137, v136                               // dataV+1 = tmp (new original C)
v_pk_add_f16 v136, v137, v[vgprValuC+108]          // newC = rC + originalC
_buffer_atomic_cmpswap_b32 v[136:137], v134, s[sgprSrdD:sgprSrdD+3] 0 offen offset:0 glc   // attempt write
s_mov_b64 exec, s[64:65]                           // must try again
v_mov_b32 v139, v138                               // dataV+1 = tmp (new original C)
v_pk_add_f16 v138, v139, v[vgprValuC+109]          // newC = rC + originalC
_buffer_atomic_cmpswap_b32 v[138:139], v135, s[sgprSrdD:sgprSrdD+3] 0 offen offset:0 glc   // attempt write
	;; [unrolled: 4-line block ×12, first 2 shown]
s_waitcnt vmcnt(0)                                 // wait for atomic writes

/* apply masks and check for success */
s_mov_b64 exec, s[62:63]                           // must try again
v_cmp_ne_u32 s[58:59], v136, v137                  // c read during atomic != c read during prior load
s_and_b64 s[62:63], s[58:59], s[62:63]             // inBounds & must try again
s_mov_b64 exec, s[64:65]                           // must try again
v_cmp_ne_u32 s[58:59], v138, v139                  // c read during atomic != c read during prior load
s_and_b64 s[64:65], s[58:59], s[64:65]             // inBounds & must try again
	;; [unrolled: 3-line block ×12, first 2 shown]

/* or masks to check for exit */
s_mov_b64 s[58:59], 0x0                            // empty mask
s_or_b64 s[58:59], s[62:63], s[58:59]              // or to add threads
s_or_b64 s[58:59], s[64:65], s[58:59]              // or to add threads
	;; [unrolled: 1-line block ×12, first 2 shown]
s_or_saveexec_b64 s[60:61], s[58:59]               // apply combined mask
s_cbranch_execnz label_0067                        // try again if not complete
label_0068:
s_mov_b64 exec, -1                                 // full mask -> exec
/* optSingleColVgpr=0 optSharedColVgpr=0 optSGPRUsage=None optSrdIncForRow=0 */

/******************************************/
/* Global Write Alpha Edge Batch #10 (d1,d0,vc1,vc0) = */
/*    (3,0,3,0:vw2:vaw:2); (3,0,3,2:vw2:vaw:2); (3,1,3,0:vw2:vaw:2); (3,1,3,2:vw2:vaw:2); (3,2,3,0:vw2:vaw:2); (3,2,3,2:vw2:vaw:2); (3,3,3,0:vw2:vaw:2); (3,3,3,2:vw2:vaw:2) */
/******************************************/

/* calc coords, apply mask, and issue loads (if necessary) */
/* (d1,vc1,d0,vc0)=(3,3,0,0) */
_v_add_co_u32 v129, vcc, v129, 1                   // coord1.1: coord1Vgpr += d1*sg1*VW + vc1

/* Fix for UseInitialStridesCD, emitAddressSetupCode */
_v_add_u32 v130, v130, s[sgprStrideC1J]            // ROWINC- Move cinRowPtr to next row
_v_add_u32 v131, v131, s[sgprStrideD1J]            // Move coutRowPtr to next row
v_cmp_lt_u32 s[58:59], v128, s[sgprSizeI]          // coord0 < size0
v_cmp_lt_u32 s[62:63], v129, s[sgprSizeJ]          // coord1 < size1
s_and_b64 s[62:63], s[58:59], s[62:63]             // in0 && in1
_v_add_lshl_u32 v134, v131, v128, 0x1              // scaleToBpe: accumulate d0 lower and *= bpe into Cin addr
v_cndmask_b32 v134, -1, v134, s[62:63]             // LDD clip if OOB. offset
_buffer_load_b32 v137, v134, s[sgprSrdD:sgprSrdD+3], 0, offen offset:0 // load D (atomic) bpm=4 vaw=2
/* (d1,vc1,d0,vc0)=(3,3,0,2) */
_v_add_co_u32 v132, vcc, v128, 2                   // coord0.1: coord0 += d0*sg0*VW + vc0
v_cmp_lt_u32 s[58:59], v132, s[sgprSizeI]          // coord0 < size0
v_cmp_lt_u32 s[64:65], v129, s[sgprSizeJ]          // coord1 < size1
s_and_b64 s[64:65], s[58:59], s[64:65]             // in0 && in1
_v_add_lshl_u32 v135, v131, v132, 0x1              // scaleToBpe: accumulate d0 lower and *= bpe into Cin addr
v_cndmask_b32 v135, -1, v135, s[64:65]             // LDD clip if OOB. offset
_buffer_load_b32 v139, v135, s[sgprSrdD:sgprSrdD+3], 0, offen offset:0 // load D (atomic) bpm=4 vaw=2
/* (d1,vc1,d0,vc0)=(3,3,1,0) */
_v_add_co_u32 v132, vcc, v128, 64                  // coord0.1: coord0 += d0*sg0*VW + vc0
v_cmp_lt_u32 s[58:59], v132, s[sgprSizeI]          // coord0 < size0
v_cmp_lt_u32 s[66:67], v129, s[sgprSizeJ]          // coord1 < size1
s_and_b64 s[66:67], s[58:59], s[66:67]             // in0 && in1
_v_add_lshl_u32 v140, v131, v132, 0x1              // scaleToBpe: accumulate d0 lower and *= bpe into Cin addr
v_cndmask_b32 v140, -1, v140, s[66:67]             // LDD clip if OOB. offset
_buffer_load_b32 v143, v140, s[sgprSrdD:sgprSrdD+3], 0, offen offset:0 // load D (atomic) bpm=4 vaw=2
/* (d1,vc1,d0,vc0)=(3,3,1,2) */
s_mov_b32 s58, 66                                  // coordOffset0 d0=1 vc0=2
_v_add_co_u32 v132, vcc, v128, s58                 // coord0.2: coord0 += d0*sg0*VW + vc0
v_cmp_lt_u32 s[58:59], v132, s[sgprSizeI]          // coord0 < size0
v_cmp_lt_u32 s[68:69], v129, s[sgprSizeJ]          // coord1 < size1
s_and_b64 s[68:69], s[58:59], s[68:69]             // in0 && in1
_v_add_lshl_u32 v141, v131, v132, 0x1              // scaleToBpe: accumulate d0 lower and *= bpe into Cin addr
v_cndmask_b32 v141, -1, v141, s[68:69]             // LDD clip if OOB. offset
_buffer_load_b32 v145, v141, s[sgprSrdD:sgprSrdD+3], 0, offen offset:0 // load D (atomic) bpm=4 vaw=2
/* (d1,vc1,d0,vc0)=(3,3,2,0) */
s_mov_b32 s58, 128                                 // coordOffset0 d0=2 vc0=0
_v_add_co_u32 v132, vcc, v128, s58                 // coord0.2: coord0 += d0*sg0*VW + vc0
v_cmp_lt_u32 s[58:59], v132, s[sgprSizeI]          // coord0 < size0
v_cmp_lt_u32 s[70:71], v129, s[sgprSizeJ]          // coord1 < size1
s_and_b64 s[70:71], s[58:59], s[70:71]             // in0 && in1
_v_add_lshl_u32 v146, v131, v132, 0x1              // scaleToBpe: accumulate d0 lower and *= bpe into Cin addr
v_cndmask_b32 v146, -1, v146, s[70:71]             // LDD clip if OOB. offset
_buffer_load_b32 v149, v146, s[sgprSrdD:sgprSrdD+3], 0, offen offset:0 // load D (atomic) bpm=4 vaw=2
/* (d1,vc1,d0,vc0)=(3,3,2,2) */
s_mov_b32 s58, 130                                 // coordOffset0 d0=2 vc0=2
	;; [unrolled: 9-line block ×4, first 2 shown]
_v_add_co_u32 v132, vcc, v128, s58                 // coord0.2: coord0 += d0*sg0*VW + vc0
v_cmp_lt_u32 s[58:59], v132, s[sgprSizeI]          // coord0 < size0
v_cmp_lt_u32 s[76:77], v129, s[sgprSizeJ]          // coord1 < size1
s_and_b64 s[76:77], s[58:59], s[76:77]             // in0 && in1
_v_add_lshl_u32 v153, v131, v132, 0x1              // scaleToBpe: accumulate d0 lower and *= bpe into Cin addr
v_cndmask_b32 v153, -1, v153, s[76:77]             // LDD clip if OOB. offset
_buffer_load_b32 v157, v153, s[sgprSrdD:sgprSrdD+3], 0, offen offset:0 // load D (atomic) bpm=4 vaw=2

/* rC *= alpha batchElements=[(3, 0, 3, 0), (3, 0, 3, 2), (3, 1, 3, 0), (3, 1, 3, 2), (3, 2, 3, 0), (3, 2, 3, 2), (3, 3, 3, 0), (3, 3, 3, 2)] */
v_pk_mul_f16 v[vgprValuC+120], s[sgprAlpha], v[vgprValuC+120] // *= alpha sumIdx=240 vi=1
v_pk_mul_f16 v[vgprValuC+121], s[sgprAlpha], v[vgprValuC+121] // *= alpha sumIdx=242 vi=1
	;; [unrolled: 1-line block ×8, first 2 shown]
s_waitcnt vmcnt(0)                                 // wait C (atomic)

/* issue first atomic writes */
s_mov_b64 exec, s[62:63]                           // sgprs -> exec (before atomic)
v_pk_add_f16 v136, v137, v[vgprValuC+120]          // desired value
_buffer_atomic_cmpswap_b32 v[136:137], v134, s[sgprSrdD:sgprSrdD+3] 0 offen offset:0 glc   // attempt write
s_mov_b64 exec, s[64:65]                           // sgprs -> exec (before atomic)
v_pk_add_f16 v138, v139, v[vgprValuC+121]          // desired value
_buffer_atomic_cmpswap_b32 v[138:139], v135, s[sgprSrdD:sgprSrdD+3] 0 offen offset:0 glc   // attempt write
	;; [unrolled: 3-line block ×8, first 2 shown]
s_waitcnt vmcnt(0)                                 // wait for atomic writes

/* check success of writes, update masks */
s_mov_b64 exec, s[62:63]                           // sgprs -> exec
v_cmp_ne_u32 s[58:59], v136, v137                  // c read during atomic != c read during prior load
s_and_b64 s[62:63], s[58:59], s[62:63]             // inBounds & must try again
s_mov_b64 exec, s[64:65]                           // sgprs -> exec
v_cmp_ne_u32 s[58:59], v138, v139                  // c read during atomic != c read during prior load
s_and_b64 s[64:65], s[58:59], s[64:65]             // inBounds & must try again
	;; [unrolled: 3-line block ×8, first 2 shown]

/* or masks to check for exit */
s_mov_b64 s[58:59], 0x0                            // empty mask
s_or_b64 s[58:59], s[62:63], s[58:59]              // or to add threads
s_or_b64 s[58:59], s[64:65], s[58:59]              // or to add threads
	;; [unrolled: 1-line block ×8, first 2 shown]
s_or_saveexec_b64 s[60:61], s[58:59]               // apply combined mask
s_cbranch_execz label_0070                         // if exec is zero skip loop

/* atomic CAS loop */
label_0069:

/* apply updated masks and issue writes again */
s_mov_b64 exec, s[62:63]                           // must try again
v_mov_b32 v137, v136                               // dataV+1 = tmp (new original C)
v_pk_add_f16 v136, v137, v[vgprValuC+120]          // newC = rC + originalC
_buffer_atomic_cmpswap_b32 v[136:137], v134, s[sgprSrdD:sgprSrdD+3] 0 offen offset:0 glc   // attempt write
s_mov_b64 exec, s[64:65]                           // must try again
v_mov_b32 v139, v138                               // dataV+1 = tmp (new original C)
v_pk_add_f16 v138, v139, v[vgprValuC+121]          // newC = rC + originalC
_buffer_atomic_cmpswap_b32 v[138:139], v135, s[sgprSrdD:sgprSrdD+3] 0 offen offset:0 glc   // attempt write
	;; [unrolled: 4-line block ×8, first 2 shown]
s_waitcnt vmcnt(0)                                 // wait for atomic writes

/* apply masks and check for success */
s_mov_b64 exec, s[62:63]                           // must try again
v_cmp_ne_u32 s[58:59], v136, v137                  // c read during atomic != c read during prior load
s_and_b64 s[62:63], s[58:59], s[62:63]             // inBounds & must try again
s_mov_b64 exec, s[64:65]                           // must try again
v_cmp_ne_u32 s[58:59], v138, v139                  // c read during atomic != c read during prior load
s_and_b64 s[64:65], s[58:59], s[64:65]             // inBounds & must try again
	;; [unrolled: 3-line block ×8, first 2 shown]

/* or masks to check for exit */
s_mov_b64 s[58:59], 0x0                            // empty mask
s_or_b64 s[58:59], s[62:63], s[58:59]              // or to add threads
s_or_b64 s[58:59], s[64:65], s[58:59]              // or to add threads
	;; [unrolled: 1-line block ×8, first 2 shown]
s_or_saveexec_b64 s[60:61], s[58:59]               // apply combined mask
s_cbranch_execnz label_0069                        // try again if not complete
label_0070:
s_mov_b64 exec, -1                                 // full mask -> exec
s_branch label_GW_End_22                           // jump to end
label_GW_End_22:

label_0071:  /// KernelEnd
s_endpgm                                           // Kernel End

